;; amdgpu-corpus repo=ROCm/rocFFT kind=compiled arch=gfx1030 opt=O3
	.text
	.amdgcn_target "amdgcn-amd-amdhsa--gfx1030"
	.amdhsa_code_object_version 6
	.protected	fft_rtc_back_len1890_factors_2_3_3_3_7_5_wgs_126_tpt_126_halfLds_half_ip_CI_unitstride_sbrr_R2C_dirReg ; -- Begin function fft_rtc_back_len1890_factors_2_3_3_3_7_5_wgs_126_tpt_126_halfLds_half_ip_CI_unitstride_sbrr_R2C_dirReg
	.globl	fft_rtc_back_len1890_factors_2_3_3_3_7_5_wgs_126_tpt_126_halfLds_half_ip_CI_unitstride_sbrr_R2C_dirReg
	.p2align	8
	.type	fft_rtc_back_len1890_factors_2_3_3_3_7_5_wgs_126_tpt_126_halfLds_half_ip_CI_unitstride_sbrr_R2C_dirReg,@function
fft_rtc_back_len1890_factors_2_3_3_3_7_5_wgs_126_tpt_126_halfLds_half_ip_CI_unitstride_sbrr_R2C_dirReg: ; @fft_rtc_back_len1890_factors_2_3_3_3_7_5_wgs_126_tpt_126_halfLds_half_ip_CI_unitstride_sbrr_R2C_dirReg
; %bb.0:
	s_clause 0x2
	s_load_dwordx4 s[8:11], s[4:5], 0x0
	s_load_dwordx2 s[2:3], s[4:5], 0x50
	s_load_dwordx2 s[12:13], s[4:5], 0x18
	v_mul_u32_u24_e32 v1, 0x209, v0
	v_mov_b32_e32 v3, 0
	v_add_nc_u32_sdwa v5, s6, v1 dst_sel:DWORD dst_unused:UNUSED_PAD src0_sel:DWORD src1_sel:WORD_1
	v_mov_b32_e32 v1, 0
	v_mov_b32_e32 v6, v3
	v_mov_b32_e32 v2, 0
	s_waitcnt lgkmcnt(0)
	v_cmp_lt_u64_e64 s0, s[10:11], 2
	s_and_b32 vcc_lo, exec_lo, s0
	s_cbranch_vccnz .LBB0_8
; %bb.1:
	s_load_dwordx2 s[0:1], s[4:5], 0x10
	v_mov_b32_e32 v1, 0
	s_add_u32 s6, s12, 8
	v_mov_b32_e32 v2, 0
	s_addc_u32 s7, s13, 0
	s_mov_b64 s[16:17], 1
	s_waitcnt lgkmcnt(0)
	s_add_u32 s14, s0, 8
	s_addc_u32 s15, s1, 0
.LBB0_2:                                ; =>This Inner Loop Header: Depth=1
	s_load_dwordx2 s[18:19], s[14:15], 0x0
                                        ; implicit-def: $vgpr11_vgpr12
	s_mov_b32 s0, exec_lo
	s_waitcnt lgkmcnt(0)
	v_or_b32_e32 v4, s19, v6
	v_cmpx_ne_u64_e32 0, v[3:4]
	s_xor_b32 s1, exec_lo, s0
	s_cbranch_execz .LBB0_4
; %bb.3:                                ;   in Loop: Header=BB0_2 Depth=1
	v_cvt_f32_u32_e32 v4, s18
	v_cvt_f32_u32_e32 v7, s19
	s_sub_u32 s0, 0, s18
	s_subb_u32 s20, 0, s19
	v_fmac_f32_e32 v4, 0x4f800000, v7
	v_rcp_f32_e32 v4, v4
	v_mul_f32_e32 v4, 0x5f7ffffc, v4
	v_mul_f32_e32 v7, 0x2f800000, v4
	v_trunc_f32_e32 v7, v7
	v_fmac_f32_e32 v4, 0xcf800000, v7
	v_cvt_u32_f32_e32 v7, v7
	v_cvt_u32_f32_e32 v4, v4
	v_mul_lo_u32 v8, s0, v7
	v_mul_hi_u32 v9, s0, v4
	v_mul_lo_u32 v10, s20, v4
	v_add_nc_u32_e32 v8, v9, v8
	v_mul_lo_u32 v9, s0, v4
	v_add_nc_u32_e32 v8, v8, v10
	v_mul_hi_u32 v10, v4, v9
	v_mul_lo_u32 v11, v4, v8
	v_mul_hi_u32 v12, v4, v8
	v_mul_hi_u32 v13, v7, v9
	v_mul_lo_u32 v9, v7, v9
	v_mul_hi_u32 v14, v7, v8
	v_mul_lo_u32 v8, v7, v8
	v_add_co_u32 v10, vcc_lo, v10, v11
	v_add_co_ci_u32_e32 v11, vcc_lo, 0, v12, vcc_lo
	v_add_co_u32 v9, vcc_lo, v10, v9
	v_add_co_ci_u32_e32 v9, vcc_lo, v11, v13, vcc_lo
	v_add_co_ci_u32_e32 v10, vcc_lo, 0, v14, vcc_lo
	v_add_co_u32 v8, vcc_lo, v9, v8
	v_add_co_ci_u32_e32 v9, vcc_lo, 0, v10, vcc_lo
	v_add_co_u32 v4, vcc_lo, v4, v8
	v_add_co_ci_u32_e32 v7, vcc_lo, v7, v9, vcc_lo
	v_mul_hi_u32 v8, s0, v4
	v_mul_lo_u32 v10, s20, v4
	v_mul_lo_u32 v9, s0, v7
	v_add_nc_u32_e32 v8, v8, v9
	v_mul_lo_u32 v9, s0, v4
	v_add_nc_u32_e32 v8, v8, v10
	v_mul_hi_u32 v10, v4, v9
	v_mul_lo_u32 v11, v4, v8
	v_mul_hi_u32 v12, v4, v8
	v_mul_hi_u32 v13, v7, v9
	v_mul_lo_u32 v9, v7, v9
	v_mul_hi_u32 v14, v7, v8
	v_mul_lo_u32 v8, v7, v8
	v_add_co_u32 v10, vcc_lo, v10, v11
	v_add_co_ci_u32_e32 v11, vcc_lo, 0, v12, vcc_lo
	v_add_co_u32 v9, vcc_lo, v10, v9
	v_add_co_ci_u32_e32 v9, vcc_lo, v11, v13, vcc_lo
	v_add_co_ci_u32_e32 v10, vcc_lo, 0, v14, vcc_lo
	v_add_co_u32 v8, vcc_lo, v9, v8
	v_add_co_ci_u32_e32 v9, vcc_lo, 0, v10, vcc_lo
	v_add_co_u32 v4, vcc_lo, v4, v8
	v_add_co_ci_u32_e32 v11, vcc_lo, v7, v9, vcc_lo
	v_mul_hi_u32 v13, v5, v4
	v_mad_u64_u32 v[9:10], null, v6, v4, 0
	v_mad_u64_u32 v[7:8], null, v5, v11, 0
	;; [unrolled: 1-line block ×3, first 2 shown]
	v_add_co_u32 v4, vcc_lo, v13, v7
	v_add_co_ci_u32_e32 v7, vcc_lo, 0, v8, vcc_lo
	v_add_co_u32 v4, vcc_lo, v4, v9
	v_add_co_ci_u32_e32 v4, vcc_lo, v7, v10, vcc_lo
	v_add_co_ci_u32_e32 v7, vcc_lo, 0, v12, vcc_lo
	v_add_co_u32 v4, vcc_lo, v4, v11
	v_add_co_ci_u32_e32 v9, vcc_lo, 0, v7, vcc_lo
	v_mul_lo_u32 v10, s19, v4
	v_mad_u64_u32 v[7:8], null, s18, v4, 0
	v_mul_lo_u32 v11, s18, v9
	v_sub_co_u32 v7, vcc_lo, v5, v7
	v_add3_u32 v8, v8, v11, v10
	v_sub_nc_u32_e32 v10, v6, v8
	v_subrev_co_ci_u32_e64 v10, s0, s19, v10, vcc_lo
	v_add_co_u32 v11, s0, v4, 2
	v_add_co_ci_u32_e64 v12, s0, 0, v9, s0
	v_sub_co_u32 v13, s0, v7, s18
	v_sub_co_ci_u32_e32 v8, vcc_lo, v6, v8, vcc_lo
	v_subrev_co_ci_u32_e64 v10, s0, 0, v10, s0
	v_cmp_le_u32_e32 vcc_lo, s18, v13
	v_cmp_eq_u32_e64 s0, s19, v8
	v_cndmask_b32_e64 v13, 0, -1, vcc_lo
	v_cmp_le_u32_e32 vcc_lo, s19, v10
	v_cndmask_b32_e64 v14, 0, -1, vcc_lo
	v_cmp_le_u32_e32 vcc_lo, s18, v7
	;; [unrolled: 2-line block ×3, first 2 shown]
	v_cndmask_b32_e64 v15, 0, -1, vcc_lo
	v_cmp_eq_u32_e32 vcc_lo, s19, v10
	v_cndmask_b32_e64 v7, v15, v7, s0
	v_cndmask_b32_e32 v10, v14, v13, vcc_lo
	v_add_co_u32 v13, vcc_lo, v4, 1
	v_add_co_ci_u32_e32 v14, vcc_lo, 0, v9, vcc_lo
	v_cmp_ne_u32_e32 vcc_lo, 0, v10
	v_cndmask_b32_e32 v8, v14, v12, vcc_lo
	v_cndmask_b32_e32 v10, v13, v11, vcc_lo
	v_cmp_ne_u32_e32 vcc_lo, 0, v7
	v_cndmask_b32_e32 v12, v9, v8, vcc_lo
	v_cndmask_b32_e32 v11, v4, v10, vcc_lo
.LBB0_4:                                ;   in Loop: Header=BB0_2 Depth=1
	s_andn2_saveexec_b32 s0, s1
	s_cbranch_execz .LBB0_6
; %bb.5:                                ;   in Loop: Header=BB0_2 Depth=1
	v_cvt_f32_u32_e32 v4, s18
	s_sub_i32 s1, 0, s18
	v_mov_b32_e32 v12, v3
	v_rcp_iflag_f32_e32 v4, v4
	v_mul_f32_e32 v4, 0x4f7ffffe, v4
	v_cvt_u32_f32_e32 v4, v4
	v_mul_lo_u32 v7, s1, v4
	v_mul_hi_u32 v7, v4, v7
	v_add_nc_u32_e32 v4, v4, v7
	v_mul_hi_u32 v4, v5, v4
	v_mul_lo_u32 v7, v4, s18
	v_add_nc_u32_e32 v8, 1, v4
	v_sub_nc_u32_e32 v7, v5, v7
	v_subrev_nc_u32_e32 v9, s18, v7
	v_cmp_le_u32_e32 vcc_lo, s18, v7
	v_cndmask_b32_e32 v7, v7, v9, vcc_lo
	v_cndmask_b32_e32 v4, v4, v8, vcc_lo
	v_cmp_le_u32_e32 vcc_lo, s18, v7
	v_add_nc_u32_e32 v8, 1, v4
	v_cndmask_b32_e32 v11, v4, v8, vcc_lo
.LBB0_6:                                ;   in Loop: Header=BB0_2 Depth=1
	s_or_b32 exec_lo, exec_lo, s0
	s_load_dwordx2 s[0:1], s[6:7], 0x0
	v_mul_lo_u32 v4, v12, s18
	v_mul_lo_u32 v9, v11, s19
	v_mad_u64_u32 v[7:8], null, v11, s18, 0
	s_add_u32 s16, s16, 1
	s_addc_u32 s17, s17, 0
	s_add_u32 s6, s6, 8
	s_addc_u32 s7, s7, 0
	;; [unrolled: 2-line block ×3, first 2 shown]
	v_add3_u32 v4, v8, v9, v4
	v_sub_co_u32 v5, vcc_lo, v5, v7
	v_sub_co_ci_u32_e32 v4, vcc_lo, v6, v4, vcc_lo
	s_waitcnt lgkmcnt(0)
	v_mul_lo_u32 v6, s1, v5
	v_mul_lo_u32 v4, s0, v4
	v_mad_u64_u32 v[1:2], null, s0, v5, v[1:2]
	v_cmp_ge_u64_e64 s0, s[16:17], s[10:11]
	s_and_b32 vcc_lo, exec_lo, s0
	v_add3_u32 v2, v6, v2, v4
	s_cbranch_vccnz .LBB0_9
; %bb.7:                                ;   in Loop: Header=BB0_2 Depth=1
	v_mov_b32_e32 v5, v11
	v_mov_b32_e32 v6, v12
	s_branch .LBB0_2
.LBB0_8:
	v_mov_b32_e32 v12, v6
	v_mov_b32_e32 v11, v5
.LBB0_9:
	s_lshl_b64 s[0:1], s[10:11], 3
	v_mul_hi_u32 v3, 0x2082083, v0
	s_add_u32 s0, s12, s0
	s_addc_u32 s1, s13, s1
	s_load_dwordx2 s[4:5], s[4:5], 0x20
	s_load_dwordx2 s[0:1], s[0:1], 0x0
	v_mul_u32_u24_e32 v3, 0x7e, v3
	v_sub_nc_u32_e32 v0, v0, v3
	v_add_nc_u32_e32 v4, 0x7e, v0
	v_add_nc_u32_e32 v10, 0xfc, v0
	;; [unrolled: 1-line block ×5, first 2 shown]
	s_waitcnt lgkmcnt(0)
	v_cmp_gt_u64_e32 vcc_lo, s[4:5], v[11:12]
	v_mul_lo_u32 v3, s0, v12
	v_mul_lo_u32 v5, s1, v11
	v_mad_u64_u32 v[1:2], null, s0, v11, v[1:2]
	v_cmp_le_u64_e64 s0, s[4:5], v[11:12]
	v_add_nc_u32_e32 v6, 0x2f4, v0
	v_add3_u32 v2, v5, v2, v3
	s_and_saveexec_b32 s1, s0
	s_xor_b32 s0, exec_lo, s1
; %bb.10:
	v_add_nc_u32_e32 v4, 0x7e, v0
	v_add_nc_u32_e32 v10, 0xfc, v0
	;; [unrolled: 1-line block ×6, first 2 shown]
; %bb.11:
	s_or_saveexec_b32 s1, s0
	v_lshlrev_b64 v[2:3], 2, v[1:2]
	s_xor_b32 exec_lo, exec_lo, s1
	s_cbranch_execz .LBB0_13
; %bb.12:
	v_mov_b32_e32 v1, 0
	v_lshlrev_b64 v[11:12], 2, v[0:1]
	v_add_co_u32 v1, s0, s2, v2
	v_add_co_ci_u32_e64 v5, s0, s3, v3, s0
	v_add_co_u32 v11, s0, v1, v11
	v_add_co_ci_u32_e64 v12, s0, v5, v12, s0
	;; [unrolled: 2-line block ×4, first 2 shown]
	s_clause 0x7
	global_load_dword v1, v[11:12], off
	global_load_dword v5, v[11:12], off offset:504
	global_load_dword v17, v[11:12], off offset:1008
	global_load_dword v18, v[11:12], off offset:1512
	global_load_dword v19, v[11:12], off offset:2016
	global_load_dword v20, v[13:14], off offset:472
	global_load_dword v21, v[13:14], off offset:976
	global_load_dword v22, v[13:14], off offset:1480
	v_add_co_u32 v11, s0, 0x1800, v11
	v_add_co_ci_u32_e64 v12, s0, 0, v12, s0
	s_clause 0x6
	global_load_dword v13, v[13:14], off offset:1984
	global_load_dword v14, v[15:16], off offset:440
	;; [unrolled: 1-line block ×7, first 2 shown]
	v_lshl_add_u32 v12, v0, 2, 0
	v_add_nc_u32_e32 v25, 0x200, v12
	v_add_nc_u32_e32 v26, 0x600, v12
	;; [unrolled: 1-line block ×6, first 2 shown]
	s_waitcnt vmcnt(13)
	ds_write2_b32 v12, v1, v5 offset1:126
	s_waitcnt vmcnt(11)
	ds_write2_b32 v25, v17, v18 offset0:124 offset1:250
	s_waitcnt vmcnt(9)
	ds_write2_b32 v26, v19, v20 offset0:120 offset1:246
	;; [unrolled: 2-line block ×6, first 2 shown]
	s_waitcnt vmcnt(0)
	ds_write_b32 v12, v11 offset:7056
.LBB0_13:
	s_or_b32 exec_lo, exec_lo, s1
	v_lshlrev_b32_e32 v11, 2, v0
	s_waitcnt lgkmcnt(0)
	s_barrier
	buffer_gl0_inv
	v_lshl_add_u32 v33, v10, 3, 0
	v_add_nc_u32_e32 v27, 0, v11
	v_lshl_add_u32 v31, v9, 3, 0
	v_lshl_add_u32 v29, v8, 3, 0
	;; [unrolled: 1-line block ×3, first 2 shown]
	v_cmp_gt_u32_e64 s0, 63, v0
	v_add_nc_u32_e32 v25, 0xa00, v27
	v_add_nc_u32_e32 v1, 0x1a00, v27
	v_add_nc_u32_e32 v5, 0x600, v27
	v_add_nc_u32_e32 v26, 0x1600, v27
	v_add_nc_u32_e32 v22, 0x200, v27
	v_add_nc_u32_e32 v35, 0x1200, v27
	ds_read2_b32 v[14:15], v27 offset1:126
	v_add_nc_u32_e32 v34, 0xe00, v27
	ds_read2_b32 v[12:13], v25 offset0:116 offset1:242
	ds_read2_b32 v[16:17], v1 offset0:37 offset1:163
	;; [unrolled: 1-line block ×7, first 2 shown]
	v_lshl_add_u32 v1, v4, 3, 0
	v_add_nc_u32_e32 v24, v27, v11
	v_lshl_add_u32 v5, v6, 3, 0
	s_waitcnt lgkmcnt(0)
	s_barrier
	buffer_gl0_inv
	v_pk_add_f16 v32, v13, v17 neg_lo:[0,1] neg_hi:[0,1]
	v_pk_add_f16 v16, v12, v16 neg_lo:[0,1] neg_hi:[0,1]
	v_pk_add_f16 v17, v19, v21 neg_lo:[0,1] neg_hi:[0,1]
	v_pk_add_f16 v20, v18, v20 neg_lo:[0,1] neg_hi:[0,1]
	v_pk_add_f16 v21, v23, v37 neg_lo:[0,1] neg_hi:[0,1]
	v_pk_add_f16 v30, v14, v38 neg_lo:[0,1] neg_hi:[0,1]
	v_pk_add_f16 v37, v15, v39 neg_lo:[0,1] neg_hi:[0,1]
	v_pk_add_f16 v36, v22, v36 neg_lo:[0,1] neg_hi:[0,1]
	v_pk_fma_f16 v18, v18, 2.0, v20 op_sel_hi:[1,0,1] neg_lo:[0,0,1] neg_hi:[0,0,1]
	v_pk_fma_f16 v23, v23, 2.0, v21 op_sel_hi:[1,0,1] neg_lo:[0,0,1] neg_hi:[0,0,1]
	;; [unrolled: 1-line block ×7, first 2 shown]
	ds_write2_b32 v24, v14, v30 offset1:1
	ds_write2_b32 v1, v15, v37 offset1:1
	;; [unrolled: 1-line block ×7, first 2 shown]
	s_and_saveexec_b32 s1, s0
	s_cbranch_execz .LBB0_15
; %bb.14:
	v_pk_fma_f16 v5, v13, 2.0, v32 op_sel_hi:[1,0,1] neg_lo:[0,0,1] neg_hi:[0,0,1]
	v_add3_u32 v12, v27, v11, 0x1b90
	ds_write2_b32 v12, v5, v32 offset1:1
.LBB0_15:
	s_or_b32 exec_lo, exec_lo, s1
	v_and_b32_e32 v50, 1, v0
	s_waitcnt lgkmcnt(0)
	s_barrier
	buffer_gl0_inv
	v_lshlrev_b32_e32 v13, 2, v10
	v_lshlrev_b32_e32 v5, 3, v50
	;; [unrolled: 1-line block ×5, first 2 shown]
	v_sub_nc_u32_e32 v39, v33, v13
	global_load_dwordx2 v[15:16], v5, s[8:9]
	v_lshlrev_b32_e32 v5, 2, v8
	v_sub_nc_u32_e32 v40, v31, v12
	v_sub_nc_u32_e32 v38, v1, v14
	;; [unrolled: 1-line block ×3, first 2 shown]
	ds_read2_b32 v[21:22], v35 offset0:108 offset1:234
	ds_read2_b32 v[17:18], v26 offset0:104 offset1:230
	;; [unrolled: 1-line block ×3, first 2 shown]
	v_sub_nc_u32_e32 v41, v29, v5
	ds_read_b32 v43, v27 offset:7056
	ds_read2_b32 v[23:24], v34 offset0:112 offset1:238
	ds_read_b32 v56, v39
	ds_read_b32 v57, v40
	;; [unrolled: 1-line block ×5, first 2 shown]
	v_lshrrev_b32_e32 v45, 1, v0
	v_lshrrev_b32_e32 v46, 1, v4
	;; [unrolled: 1-line block ×3, first 2 shown]
	v_and_b32_e32 v36, 0xff, v0
	v_and_b32_e32 v37, 0xff, v4
	ds_read_u16 v62, v27 offset:6050
	ds_read_b32 v63, v27
	v_lshrrev_b32_e32 v48, 1, v9
	v_lshrrev_b32_e32 v49, 1, v8
	v_mov_b32_e32 v51, 0xaaab
	v_mul_u32_u24_e32 v45, 6, v45
	v_mul_lo_u32 v52, v46, 6
	v_mul_lo_u32 v53, v47, 6
	v_mul_lo_u16 v46, 0xab, v36
	v_mul_lo_u16 v47, 0xab, v37
	v_mul_lo_u32 v54, v48, 6
	v_mul_lo_u32 v55, v49, 6
	v_mul_u32_u24_sdwa v48, v10, v51 dst_sel:DWORD dst_unused:UNUSED_PAD src0_sel:WORD_0 src1_sel:DWORD
	v_mul_u32_u24_sdwa v49, v9, v51 dst_sel:DWORD dst_unused:UNUSED_PAD src0_sel:WORD_0 src1_sel:DWORD
	;; [unrolled: 1-line block ×3, first 2 shown]
	v_or_b32_e32 v61, v45, v50
	v_lshrrev_b16 v45, 10, v46
	v_lshrrev_b16 v47, 10, v47
	s_waitcnt lgkmcnt(11)
	v_lshrrev_b32_e32 v69, 16, v21
	v_lshrrev_b32_e32 v46, 18, v51
	v_or_b32_e32 v51, v52, v50
	v_or_b32_e32 v52, v53, v50
	;; [unrolled: 1-line block ×4, first 2 shown]
	v_mul_lo_u16 v54, v45, 6
	v_lshl_add_u32 v55, v61, 2, 0
	v_mul_lo_u16 v61, v47, 6
	s_waitcnt lgkmcnt(10)
	v_lshrrev_b32_e32 v70, 16, v18
	s_waitcnt lgkmcnt(2)
	v_lshrrev_b32_e32 v76, 16, v60
	v_lshrrev_b32_e32 v71, 16, v19
	;; [unrolled: 1-line block ×4, first 2 shown]
	v_lshl_add_u32 v66, v51, 2, 0
	v_lshl_add_u32 v68, v50, 2, 0
	v_lshrrev_b32_e32 v74, 16, v23
	v_sub_nc_u16 v50, v0, v54
	v_sub_nc_u16 v51, v4, v61
	v_lshrrev_b32_e32 v54, 16, v24
	v_lshrrev_b32_e32 v61, 16, v43
	s_waitcnt lgkmcnt(0)
	v_lshrrev_b32_e32 v77, 16, v63
	v_lshrrev_b32_e32 v78, 16, v59
	;; [unrolled: 1-line block ×7, first 2 shown]
	v_lshl_add_u32 v67, v52, 2, 0
	v_mov_b32_e32 v44, 3
	s_waitcnt vmcnt(0)
	v_mul_lo_u16 v64, v48, 6
	s_barrier
	buffer_gl0_inv
	v_mul_lo_u16 v65, v49, 6
	v_lshl_add_u32 v53, v53, 2, 0
	v_sub_nc_u16 v52, v10, v64
	v_lshlrev_b32_sdwa v64, v44, v50 dst_sel:DWORD dst_unused:UNUSED_PAD src0_sel:DWORD src1_sel:BYTE_0
	v_lshlrev_b32_sdwa v75, v44, v51 dst_sel:DWORD dst_unused:UNUSED_PAD src0_sel:DWORD src1_sel:BYTE_0
	v_cmp_gt_u32_e64 s1, 18, v0
	v_mul_f16_sdwa v82, v16, v69 dst_sel:DWORD dst_unused:UNUSED_PAD src0_sel:WORD_1 src1_sel:DWORD
	v_mul_f16_sdwa v83, v16, v21 dst_sel:DWORD dst_unused:UNUSED_PAD src0_sel:WORD_1 src1_sel:DWORD
	v_mul_f16_sdwa v90, v62, v16 dst_sel:DWORD dst_unused:UNUSED_PAD src0_sel:DWORD src1_sel:WORD_1
	v_mul_f16_sdwa v91, v70, v16 dst_sel:DWORD dst_unused:UNUSED_PAD src0_sel:DWORD src1_sel:WORD_1
	v_mul_f16_sdwa v98, v15, v76 dst_sel:DWORD dst_unused:UNUSED_PAD src0_sel:WORD_1 src1_sel:DWORD
	v_mul_f16_sdwa v99, v15, v60 dst_sel:DWORD dst_unused:UNUSED_PAD src0_sel:WORD_1 src1_sel:DWORD
	;; [unrolled: 1-line block ×9, first 2 shown]
	v_mul_f16_sdwa v93, v18, v16 dst_sel:DWORD dst_unused:UNUSED_PAD src0_sel:DWORD src1_sel:WORD_1
	v_mul_f16_sdwa v94, v74, v15 dst_sel:DWORD dst_unused:UNUSED_PAD src0_sel:DWORD src1_sel:WORD_1
	;; [unrolled: 1-line block ×7, first 2 shown]
	v_fmac_f16_e32 v82, v16, v21
	v_fmac_f16_e32 v90, v16, v17
	;; [unrolled: 1-line block ×4, first 2 shown]
	v_fma_f16 v17, v15, v76, -v99
	v_fma_f16 v18, v16, v69, -v83
	v_fmac_f16_e32 v86, v16, v22
	v_fmac_f16_e32 v84, v15, v19
	;; [unrolled: 1-line block ×3, first 2 shown]
	v_fma_f16 v19, v15, v71, -v85
	v_fma_f16 v20, v16, v72, -v87
	;; [unrolled: 1-line block ×4, first 2 shown]
	v_fmac_f16_e32 v94, v23, v15
	v_fmac_f16_e32 v95, v24, v15
	v_fma_f16 v23, v74, v15, -v96
	v_fma_f16 v24, v70, v16, -v93
	;; [unrolled: 1-line block ×3, first 2 shown]
	v_fmac_f16_e32 v100, v43, v16
	v_fma_f16 v16, v61, v16, -v101
	v_add_f16_e32 v54, v98, v82
	v_add_f16_e32 v62, v17, v18
	;; [unrolled: 1-line block ×7, first 2 shown]
	v_sub_f16_e32 v60, v98, v82
	v_add_f16_e32 v61, v77, v17
	v_sub_f16_e32 v17, v17, v18
	v_add_f16_e32 v74, v56, v88
	;; [unrolled: 2-line block ×3, first 2 shown]
	v_add_f16_e32 v93, v23, v24
	v_add_f16_e32 v96, v95, v100
	;; [unrolled: 1-line block ×3, first 2 shown]
	v_fmac_f16_e32 v63, -0.5, v54
	v_fmac_f16_e32 v77, -0.5, v62
	v_add_f16_e32 v69, v59, v84
	v_sub_f16_e32 v71, v84, v86
	v_add_f16_e32 v72, v78, v19
	v_sub_f16_e32 v19, v19, v20
	v_fmac_f16_e32 v59, -0.5, v70
	v_fmac_f16_e32 v78, -0.5, v73
	v_add_f16_e32 v84, v79, v21
	v_sub_f16_e32 v21, v21, v22
	v_fmac_f16_e32 v56, -0.5, v76
	v_fmac_f16_e32 v79, -0.5, v85
	v_add_f16_e32 v87, v57, v94
	v_sub_f16_e32 v89, v94, v91
	v_add_f16_e32 v92, v80, v23
	v_sub_f16_e32 v23, v23, v24
	;; [unrolled: 2-line block ×4, first 2 shown]
	v_add_f16_e32 v43, v43, v82
	v_add_f16_e32 v18, v61, v18
	v_fmac_f16_e32 v57, -0.5, v88
	v_fmac_f16_e32 v80, -0.5, v93
	;; [unrolled: 1-line block ×4, first 2 shown]
	v_fmamk_f16 v70, v17, 0xbaee, v63
	v_fmac_f16_e32 v63, 0x3aee, v17
	v_fmamk_f16 v17, v60, 0x3aee, v77
	v_fmac_f16_e32 v77, 0xbaee, v60
	v_add_f16_e32 v54, v69, v86
	v_add_f16_e32 v20, v72, v20
	v_fmamk_f16 v60, v19, 0xbaee, v59
	v_fmac_f16_e32 v59, 0x3aee, v19
	v_fmamk_f16 v19, v71, 0x3aee, v78
	v_fmac_f16_e32 v78, 0xbaee, v71
	v_add_f16_e32 v61, v74, v90
	v_add_f16_e32 v22, v84, v22
	v_fmamk_f16 v71, v21, 0xbaee, v56
	v_fmac_f16_e32 v56, 0x3aee, v21
	v_fmamk_f16 v21, v83, 0x3aee, v79
	v_add_f16_e32 v62, v87, v91
	v_add_f16_e32 v24, v92, v24
	;; [unrolled: 1-line block ×4, first 2 shown]
	v_fmac_f16_e32 v79, 0xbaee, v83
	v_fmamk_f16 v72, v23, 0xbaee, v57
	v_fmac_f16_e32 v57, 0x3aee, v23
	v_fmamk_f16 v23, v89, 0x3aee, v80
	;; [unrolled: 2-line block ×4, first 2 shown]
	v_fmac_f16_e32 v81, 0xbaee, v95
	v_pack_b32_f16 v18, v43, v18
	v_pack_b32_f16 v17, v70, v17
	;; [unrolled: 1-line block ×15, first 2 shown]
	ds_write2_b32 v55, v18, v17 offset1:2
	ds_write_b32 v55, v43 offset:16
	ds_write2_b32 v66, v20, v19 offset1:2
	ds_write_b32 v66, v54 offset:16
	;; [unrolled: 2-line block ×5, first 2 shown]
	v_mul_lo_u16 v21, v46, 6
	v_sub_nc_u16 v53, v9, v65
	v_lshlrev_b32_sdwa v19, v44, v52 dst_sel:DWORD dst_unused:UNUSED_PAD src0_sel:DWORD src1_sel:WORD_0
	s_waitcnt lgkmcnt(0)
	s_barrier
	v_sub_nc_u16 v54, v8, v21
	buffer_gl0_inv
	s_clause 0x1
	global_load_dwordx2 v[15:16], v64, s[8:9] offset:16
	global_load_dwordx2 v[17:18], v75, s[8:9] offset:16
	v_lshlrev_b32_sdwa v22, v44, v53 dst_sel:DWORD dst_unused:UNUSED_PAD src0_sel:DWORD src1_sel:WORD_0
	v_lshlrev_b32_sdwa v23, v44, v54 dst_sel:DWORD dst_unused:UNUSED_PAD src0_sel:DWORD src1_sel:WORD_0
	global_load_dwordx2 v[19:20], v19, s[8:9] offset:16
	v_mov_b32_e32 v55, 0xe38f
	v_mul_lo_u16 v57, v36, 57
	s_clause 0x1
	global_load_dwordx2 v[21:22], v22, s[8:9] offset:16
	global_load_dwordx2 v[23:24], v23, s[8:9] offset:16
	v_mul_lo_u16 v58, v37, 57
	v_mul_u32_u24_sdwa v59, v10, v55 dst_sel:DWORD dst_unused:UNUSED_PAD src0_sel:WORD_0 src1_sel:DWORD
	v_mov_b32_e32 v56, 0x48
	v_lshrrev_b16 v57, 10, v57
	v_mov_b32_e32 v43, 2
	v_lshrrev_b16 v58, 10, v58
	v_lshrrev_b32_e32 v59, 20, v59
	v_mul_u32_u24_sdwa v61, v45, v56 dst_sel:DWORD dst_unused:UNUSED_PAD src0_sel:WORD_0 src1_sel:DWORD
	v_mul_u32_u24_sdwa v56, v47, v56 dst_sel:DWORD dst_unused:UNUSED_PAD src0_sel:WORD_0 src1_sel:DWORD
	v_mul_u32_u24_e32 v62, 0x48, v48
	v_mul_lo_u16 v45, v57, 18
	v_mul_lo_u16 v47, v58, 18
	;; [unrolled: 1-line block ×3, first 2 shown]
	v_mul_u32_u24_e32 v63, 0x48, v49
	v_mul_u32_u24_e32 v64, 0x48, v46
	v_sub_nc_u16 v66, v0, v45
	v_sub_nc_u16 v67, v4, v47
	;; [unrolled: 1-line block ×3, first 2 shown]
	v_lshlrev_b32_sdwa v69, v43, v50 dst_sel:DWORD dst_unused:UNUSED_PAD src0_sel:DWORD src1_sel:BYTE_0
	v_lshlrev_b32_sdwa v70, v43, v51 dst_sel:DWORD dst_unused:UNUSED_PAD src0_sel:DWORD src1_sel:BYTE_0
	v_lshlrev_b32_sdwa v71, v43, v52 dst_sel:DWORD dst_unused:UNUSED_PAD src0_sel:DWORD src1_sel:WORD_0
	ds_read2_b32 v[45:46], v35 offset0:108 offset1:234
	ds_read2_b32 v[47:48], v25 offset0:116 offset1:242
	ds_read_b32 v72, v42
	ds_read2_b32 v[49:50], v26 offset0:104 offset1:230
	ds_read_b32 v73, v38
	ds_read_b32 v74, v39
	;; [unrolled: 1-line block ×4, first 2 shown]
	ds_read2_b32 v[51:52], v34 offset0:112 offset1:238
	ds_read_b32 v77, v27 offset:7056
	ds_read_u16 v78, v27 offset:3530
	ds_read_b32 v79, v27
	v_lshlrev_b32_sdwa v53, v43, v53 dst_sel:DWORD dst_unused:UNUSED_PAD src0_sel:DWORD src1_sel:WORD_0
	v_lshlrev_b32_sdwa v54, v43, v54 dst_sel:DWORD dst_unused:UNUSED_PAD src0_sel:DWORD src1_sel:WORD_0
	v_add3_u32 v61, 0, v61, v69
	v_add3_u32 v56, 0, v56, v70
	;; [unrolled: 1-line block ×5, first 2 shown]
	v_mul_u32_u24_sdwa v60, v9, v55 dst_sel:DWORD dst_unused:UNUSED_PAD src0_sel:WORD_0 src1_sel:DWORD
	s_waitcnt lgkmcnt(11)
	v_lshrrev_b32_e32 v64, 16, v45
	v_lshrrev_b32_e32 v69, 16, v46
	s_waitcnt lgkmcnt(9)
	v_lshrrev_b32_e32 v63, 16, v72
	v_lshrrev_b32_e32 v70, 16, v47
	;; [unrolled: 3-line block ×3, first 2 shown]
	s_waitcnt lgkmcnt(7)
	v_lshrrev_b32_e32 v87, 16, v73
	s_waitcnt lgkmcnt(4)
	v_lshrrev_b32_e32 v90, 16, v76
	;; [unrolled: 2-line block ×3, first 2 shown]
	v_lshrrev_b32_e32 v84, 16, v52
	s_waitcnt lgkmcnt(2)
	v_lshrrev_b32_e32 v85, 16, v77
	s_waitcnt lgkmcnt(0)
	v_lshrrev_b32_e32 v86, 16, v79
	v_lshrrev_b32_e32 v88, 16, v74
	;; [unrolled: 1-line block ×3, first 2 shown]
	v_mul_u32_u24_sdwa v55, v8, v55 dst_sel:DWORD dst_unused:UNUSED_PAD src0_sel:WORD_0 src1_sel:DWORD
	v_lshrrev_b32_e32 v60, 20, v60
	s_waitcnt vmcnt(0)
	s_barrier
	buffer_gl0_inv
	v_lshrrev_b32_e32 v55, 20, v55
	v_mul_lo_u16 v65, v60, 18
	v_lshlrev_b32_sdwa v80, v44, v66 dst_sel:DWORD dst_unused:UNUSED_PAD src0_sel:DWORD src1_sel:BYTE_0
	v_lshlrev_b32_sdwa v81, v44, v67 dst_sel:DWORD dst_unused:UNUSED_PAD src0_sel:DWORD src1_sel:BYTE_0
	v_mul_u32_u24_e32 v59, 0xd8, v59
	v_mul_u32_u24_e32 v60, 0xd8, v60
	v_mul_f16_sdwa v91, v15, v63 dst_sel:DWORD dst_unused:UNUSED_PAD src0_sel:WORD_1 src1_sel:DWORD
	v_mul_f16_sdwa v92, v15, v72 dst_sel:DWORD dst_unused:UNUSED_PAD src0_sel:WORD_1 src1_sel:DWORD
	;; [unrolled: 1-line block ×8, first 2 shown]
	v_mul_f16_sdwa v99, v78, v19 dst_sel:DWORD dst_unused:UNUSED_PAD src0_sel:DWORD src1_sel:WORD_1
	v_mul_f16_sdwa v100, v19, v48 dst_sel:DWORD dst_unused:UNUSED_PAD src0_sel:WORD_1 src1_sel:DWORD
	v_mul_f16_sdwa v101, v49, v20 dst_sel:DWORD dst_unused:UNUSED_PAD src0_sel:DWORD src1_sel:WORD_1
	v_mul_f16_sdwa v102, v71, v20 dst_sel:DWORD dst_unused:UNUSED_PAD src0_sel:DWORD src1_sel:WORD_1
	;; [unrolled: 1-line block ×4, first 2 shown]
	v_fmac_f16_e32 v91, v15, v72
	v_mul_f16_sdwa v72, v51, v21 dst_sel:DWORD dst_unused:UNUSED_PAD src0_sel:DWORD src1_sel:WORD_1
	v_fma_f16 v15, v15, v63, -v92
	v_mul_f16_sdwa v63, v83, v21 dst_sel:DWORD dst_unused:UNUSED_PAD src0_sel:DWORD src1_sel:WORD_1
	v_fma_f16 v64, v16, v64, -v93
	v_mul_f16_sdwa v92, v84, v23 dst_sel:DWORD dst_unused:UNUSED_PAD src0_sel:DWORD src1_sel:WORD_1
	v_fmac_f16_e32 v94, v16, v45
	v_mul_f16_sdwa v16, v52, v23 dst_sel:DWORD dst_unused:UNUSED_PAD src0_sel:DWORD src1_sel:WORD_1
	v_mul_f16_sdwa v45, v85, v24 dst_sel:DWORD dst_unused:UNUSED_PAD src0_sel:DWORD src1_sel:WORD_1
	v_fmac_f16_e32 v95, v18, v46
	v_mul_f16_sdwa v46, v77, v24 dst_sel:DWORD dst_unused:UNUSED_PAD src0_sel:DWORD src1_sel:WORD_1
	v_fma_f16 v18, v18, v69, -v96
	v_fma_f16 v69, v17, v70, -v97
	v_fmac_f16_e32 v98, v17, v47
	v_fmac_f16_e32 v99, v19, v48
	v_fma_f16 v17, v78, v19, -v100
	v_fma_f16 v19, v71, v20, -v101
	v_fmac_f16_e32 v102, v49, v20
	v_fmac_f16_e32 v103, v50, v22
	;; [unrolled: 4-line block ×3, first 2 shown]
	v_fma_f16 v16, v84, v23, -v16
	v_fmac_f16_e32 v45, v77, v24
	v_fma_f16 v21, v85, v24, -v46
	v_add_f16_e32 v23, v79, v91
	v_add_f16_e32 v24, v91, v94
	;; [unrolled: 1-line block ×8, first 2 shown]
	v_sub_f16_e32 v46, v91, v94
	v_sub_f16_e32 v15, v15, v64
	v_add_f16_e32 v49, v73, v98
	v_sub_f16_e32 v51, v98, v95
	v_add_f16_e32 v84, v63, v103
	v_add_f16_e32 v91, v22, v20
	;; [unrolled: 1-line block ×5, first 2 shown]
	v_fmac_f16_e32 v79, -0.5, v24
	v_add_f16_e32 v24, v47, v64
	v_fmac_f16_e32 v86, -0.5, v48
	v_add_f16_e32 v93, v76, v92
	v_add_f16_e32 v97, v90, v16
	v_add_f16_e32 v52, v87, v69
	v_sub_f16_e32 v69, v69, v18
	v_fmac_f16_e32 v73, -0.5, v50
	v_fmac_f16_e32 v87, -0.5, v70
	v_add_f16_e32 v71, v74, v99
	v_sub_f16_e32 v77, v99, v102
	v_add_f16_e32 v78, v88, v17
	v_sub_f16_e32 v17, v17, v19
	v_fmac_f16_e32 v74, -0.5, v72
	v_fmac_f16_e32 v88, -0.5, v82
	v_add_f16_e32 v83, v75, v63
	v_sub_f16_e32 v63, v63, v103
	v_add_f16_e32 v85, v89, v22
	v_sub_f16_e32 v22, v22, v20
	v_sub_f16_e32 v92, v92, v45
	;; [unrolled: 1-line block ×3, first 2 shown]
	v_fmac_f16_e32 v75, -0.5, v84
	v_fmac_f16_e32 v89, -0.5, v91
	;; [unrolled: 1-line block ×4, first 2 shown]
	v_pack_b32_f16 v23, v23, v24
	v_fmamk_f16 v24, v15, 0xbaee, v79
	v_fmamk_f16 v50, v46, 0x3aee, v86
	v_add_f16_e32 v45, v93, v45
	v_add_f16_e32 v21, v97, v21
	v_fmac_f16_e32 v79, 0x3aee, v15
	v_fmac_f16_e32 v86, 0xbaee, v46
	v_add_f16_e32 v47, v49, v95
	v_add_f16_e32 v18, v52, v18
	v_fmamk_f16 v15, v69, 0xbaee, v73
	v_fmamk_f16 v46, v51, 0x3aee, v87
	v_fmac_f16_e32 v73, 0x3aee, v69
	v_fmac_f16_e32 v87, 0xbaee, v51
	v_add_f16_e32 v48, v71, v102
	v_add_f16_e32 v19, v78, v19
	v_fmamk_f16 v51, v17, 0xbaee, v74
	v_fmac_f16_e32 v74, 0x3aee, v17
	v_fmamk_f16 v17, v77, 0x3aee, v88
	v_add_f16_e32 v49, v83, v103
	v_add_f16_e32 v20, v85, v20
	v_fmac_f16_e32 v88, 0xbaee, v77
	v_fmamk_f16 v52, v22, 0xbaee, v75
	v_fmac_f16_e32 v75, 0x3aee, v22
	v_fmamk_f16 v22, v63, 0x3aee, v89
	;; [unrolled: 2-line block ×4, first 2 shown]
	v_fmac_f16_e32 v90, 0xbaee, v92
	v_pack_b32_f16 v24, v24, v50
	v_pack_b32_f16 v21, v45, v21
	;; [unrolled: 1-line block ×14, first 2 shown]
	ds_write2_b32 v61, v23, v24 offset1:6
	ds_write_b32 v61, v45 offset:48
	ds_write2_b32 v56, v18, v15 offset1:6
	ds_write_b32 v56, v46 offset:48
	;; [unrolled: 2-line block ×5, first 2 shown]
	v_mul_lo_u16 v19, v55, 18
	v_sub_nc_u16 v48, v9, v65
	v_lshlrev_b32_sdwa v20, v44, v68 dst_sel:DWORD dst_unused:UNUSED_PAD src0_sel:DWORD src1_sel:WORD_0
	s_waitcnt lgkmcnt(0)
	s_barrier
	v_sub_nc_u16 v49, v8, v19
	v_lshlrev_b32_sdwa v21, v44, v48 dst_sel:DWORD dst_unused:UNUSED_PAD src0_sel:DWORD src1_sel:WORD_0
	buffer_gl0_inv
	s_clause 0x1
	global_load_dwordx2 v[15:16], v80, s[8:9] offset:64
	global_load_dwordx2 v[17:18], v81, s[8:9] offset:64
	v_lshlrev_b32_sdwa v23, v44, v49 dst_sel:DWORD dst_unused:UNUSED_PAD src0_sel:DWORD src1_sel:WORD_0
	s_clause 0x2
	global_load_dwordx2 v[19:20], v20, s[8:9] offset:64
	global_load_dwordx2 v[21:22], v21, s[8:9] offset:64
	;; [unrolled: 1-line block ×3, first 2 shown]
	v_mov_b32_e32 v44, 0xd8
	v_lshlrev_b32_sdwa v61, v43, v66 dst_sel:DWORD dst_unused:UNUSED_PAD src0_sel:DWORD src1_sel:BYTE_0
	v_lshlrev_b32_sdwa v62, v43, v67 dst_sel:DWORD dst_unused:UNUSED_PAD src0_sel:DWORD src1_sel:BYTE_0
	v_lshlrev_b32_sdwa v63, v43, v68 dst_sel:DWORD dst_unused:UNUSED_PAD src0_sel:DWORD src1_sel:WORD_0
	v_mul_u32_u24_e32 v55, 0xd8, v55
	v_mul_u32_u24_sdwa v57, v57, v44 dst_sel:DWORD dst_unused:UNUSED_PAD src0_sel:WORD_0 src1_sel:DWORD
	v_mul_u32_u24_sdwa v58, v58, v44 dst_sel:DWORD dst_unused:UNUSED_PAD src0_sel:WORD_0 src1_sel:DWORD
	ds_read2_b32 v[44:45], v35 offset0:108 offset1:234
	ds_read2_b32 v[46:47], v25 offset0:116 offset1:242
	ds_read_b32 v42, v42
	ds_read2_b32 v[25:26], v26 offset0:104 offset1:230
	ds_read_b32 v64, v38
	ds_read_b32 v65, v39
	;; [unrolled: 1-line block ×4, first 2 shown]
	ds_read2_b32 v[39:40], v34 offset0:112 offset1:238
	ds_read_b32 v41, v27 offset:7056
	ds_read_u16 v67, v27 offset:3530
	ds_read_b32 v68, v27
	v_lshlrev_b32_sdwa v34, v43, v48 dst_sel:DWORD dst_unused:UNUSED_PAD src0_sel:DWORD src1_sel:WORD_0
	v_lshlrev_b32_sdwa v48, v43, v49 dst_sel:DWORD dst_unused:UNUSED_PAD src0_sel:DWORD src1_sel:WORD_0
	v_add3_u32 v49, 0, v57, v61
	v_add3_u32 v57, 0, v58, v62
	;; [unrolled: 1-line block ×5, first 2 shown]
	v_add_nc_u32_e32 v50, 0x400, v27
	s_waitcnt lgkmcnt(11)
	v_lshrrev_b32_e32 v60, 16, v44
	v_lshrrev_b32_e32 v61, 16, v45
	s_waitcnt lgkmcnt(9)
	v_lshrrev_b32_e32 v55, 16, v42
	v_lshrrev_b32_e32 v62, 16, v46
	;; [unrolled: 3-line block ×3, first 2 shown]
	s_waitcnt lgkmcnt(7)
	v_lshrrev_b32_e32 v74, 16, v64
	s_waitcnt lgkmcnt(6)
	v_lshrrev_b32_e32 v75, 16, v65
	;; [unrolled: 2-line block ×3, first 2 shown]
	v_lshrrev_b32_e32 v71, 16, v40
	s_waitcnt lgkmcnt(2)
	v_lshrrev_b32_e32 v72, 16, v41
	s_waitcnt lgkmcnt(0)
	v_lshrrev_b32_e32 v73, 16, v68
	v_lshrrev_b32_e32 v76, 16, v66
	;; [unrolled: 1-line block ×3, first 2 shown]
	v_add_nc_u32_e32 v51, 0x800, v27
	v_add_nc_u32_e32 v52, 0xc00, v27
	;; [unrolled: 1-line block ×5, first 2 shown]
	s_waitcnt vmcnt(0)
	s_barrier
	buffer_gl0_inv
	v_mul_f16_sdwa v77, v15, v55 dst_sel:DWORD dst_unused:UNUSED_PAD src0_sel:WORD_1 src1_sel:DWORD
	v_mul_f16_sdwa v78, v15, v42 dst_sel:DWORD dst_unused:UNUSED_PAD src0_sel:WORD_1 src1_sel:DWORD
	;; [unrolled: 1-line block ×8, first 2 shown]
	v_mul_f16_sdwa v85, v67, v19 dst_sel:DWORD dst_unused:UNUSED_PAD src0_sel:DWORD src1_sel:WORD_1
	v_mul_f16_sdwa v86, v19, v47 dst_sel:DWORD dst_unused:UNUSED_PAD src0_sel:WORD_1 src1_sel:DWORD
	v_mul_f16_sdwa v87, v25, v20 dst_sel:DWORD dst_unused:UNUSED_PAD src0_sel:DWORD src1_sel:WORD_1
	v_mul_f16_sdwa v88, v63, v20 dst_sel:DWORD dst_unused:UNUSED_PAD src0_sel:DWORD src1_sel:WORD_1
	;; [unrolled: 1-line block ×10, first 2 shown]
	v_fmac_f16_e32 v77, v15, v42
	v_fma_f16 v15, v15, v55, -v78
	v_fma_f16 v42, v16, v60, -v79
	v_fmac_f16_e32 v80, v16, v44
	v_fmac_f16_e32 v81, v18, v45
	v_fma_f16 v16, v18, v61, -v82
	v_fma_f16 v18, v17, v62, -v83
	v_fmac_f16_e32 v84, v17, v46
	;; [unrolled: 4-line block ×4, first 2 shown]
	v_fmac_f16_e32 v93, v40, v23
	v_fma_f16 v21, v71, v23, -v94
	v_fmac_f16_e32 v95, v41, v24
	v_fma_f16 v23, v72, v24, -v96
	v_add_f16_e32 v25, v77, v80
	v_add_f16_e32 v40, v15, v42
	;; [unrolled: 1-line block ×11, first 2 shown]
	v_sub_f16_e32 v26, v77, v80
	v_add_f16_e32 v39, v73, v15
	v_sub_f16_e32 v15, v15, v42
	v_fmac_f16_e32 v68, -0.5, v25
	v_fmac_f16_e32 v73, -0.5, v40
	v_add_f16_e32 v41, v64, v84
	v_sub_f16_e32 v45, v84, v81
	v_add_f16_e32 v46, v74, v18
	v_sub_f16_e32 v18, v18, v16
	v_fmac_f16_e32 v64, -0.5, v44
	v_fmac_f16_e32 v74, -0.5, v47
	v_add_f16_e32 v55, v65, v85
	v_sub_f16_e32 v61, v85, v88
	v_add_f16_e32 v62, v75, v17
	v_sub_f16_e32 v17, v17, v19
	;; [unrolled: 2-line block ×6, first 2 shown]
	v_fmac_f16_e32 v65, -0.5, v60
	v_fmac_f16_e32 v75, -0.5, v63
	;; [unrolled: 1-line block ×6, first 2 shown]
	v_add_f16_e32 v24, v24, v80
	v_add_f16_e32 v25, v39, v42
	v_fmamk_f16 v44, v15, 0xbaee, v68
	v_fmac_f16_e32 v68, 0x3aee, v15
	v_fmamk_f16 v15, v26, 0x3aee, v73
	v_fmac_f16_e32 v73, 0xbaee, v26
	v_add_f16_e32 v39, v41, v81
	v_add_f16_e32 v16, v46, v16
	v_fmamk_f16 v26, v18, 0xbaee, v64
	v_fmac_f16_e32 v64, 0x3aee, v18
	v_fmamk_f16 v18, v45, 0x3aee, v74
	v_fmac_f16_e32 v74, 0xbaee, v45
	v_add_f16_e32 v40, v55, v88
	v_add_f16_e32 v19, v62, v19
	;; [unrolled: 1-line block ×6, first 2 shown]
	v_fmamk_f16 v45, v17, 0xbaee, v65
	v_fmac_f16_e32 v65, 0x3aee, v17
	v_fmamk_f16 v17, v61, 0x3aee, v75
	v_fmamk_f16 v46, v22, 0xbaee, v66
	v_fmac_f16_e32 v66, 0x3aee, v22
	v_fmamk_f16 v22, v70, 0x3aee, v76
	;; [unrolled: 3-line block ×3, first 2 shown]
	v_fmac_f16_e32 v75, 0xbaee, v61
	v_fmac_f16_e32 v76, 0xbaee, v70
	;; [unrolled: 1-line block ×3, first 2 shown]
	v_pack_b32_f16 v24, v24, v25
	v_pack_b32_f16 v15, v44, v15
	;; [unrolled: 1-line block ×15, first 2 shown]
	ds_write2_b32 v49, v24, v15 offset1:18
	ds_write_b32 v49, v25 offset:144
	ds_write2_b32 v57, v16, v18 offset1:18
	ds_write_b32 v57, v26 offset:144
	;; [unrolled: 2-line block ×5, first 2 shown]
	s_waitcnt lgkmcnt(0)
	s_barrier
	buffer_gl0_inv
	ds_read2_b32 v[25:26], v50 offset0:14 offset1:140
	ds_read2_b32 v[23:24], v51 offset0:28 offset1:154
	;; [unrolled: 1-line block ×6, first 2 shown]
	ds_read_b32 v50, v27
	ds_read_b32 v49, v38
	v_sub_nc_u32_e32 v38, 0, v13
                                        ; implicit-def: $vgpr39
                                        ; implicit-def: $vgpr42
                                        ; implicit-def: $vgpr40
                                        ; implicit-def: $vgpr48
                                        ; implicit-def: $vgpr46
                                        ; implicit-def: $vgpr45
                                        ; implicit-def: $vgpr44
                                        ; implicit-def: $vgpr47
                                        ; implicit-def: $vgpr41
	v_add_nc_u32_e32 v33, v33, v38
                                        ; implicit-def: $vgpr38
	s_and_saveexec_b32 s4, s1
	s_cbranch_execz .LBB0_17
; %bb.16:
	ds_read_b32 v35, v33
	ds_read_b32 v38, v27 offset:3168
	ds_read_b32 v41, v27 offset:4248
	;; [unrolled: 1-line block ×6, first 2 shown]
	s_waitcnt lgkmcnt(6)
	v_lshrrev_b32_e32 v34, 16, v35
	s_waitcnt lgkmcnt(5)
	v_lshrrev_b32_e32 v39, 16, v38
	;; [unrolled: 2-line block ×6, first 2 shown]
.LBB0_17:
	s_or_b32 exec_lo, exec_lo, s4
	v_mul_lo_u16 v36, v36, 19
	v_mul_lo_u16 v37, v37, 19
	v_mov_b32_e32 v55, 6
	v_mov_b32_e32 v71, 0x5e8
	s_waitcnt lgkmcnt(7)
	v_lshrrev_b32_e32 v70, 16, v25
	v_lshrrev_b16 v63, 10, v36
	v_lshrrev_b16 v65, 10, v37
	s_waitcnt lgkmcnt(6)
	v_lshrrev_b32_e32 v72, 16, v23
	s_waitcnt lgkmcnt(3)
	v_lshrrev_b32_e32 v75, 16, v17
	v_lshrrev_b32_e32 v68, 16, v18
	v_mul_lo_u16 v36, v63, 54
	v_mul_lo_u16 v37, v65, 54
	s_waitcnt lgkmcnt(2)
	v_lshrrev_b32_e32 v69, 16, v16
	v_lshrrev_b32_e32 v73, 16, v21
	;; [unrolled: 1-line block ×3, first 2 shown]
	v_sub_nc_u16 v64, v0, v36
	v_sub_nc_u16 v66, v4, v37
	v_mul_u32_u24_sdwa v63, v63, v71 dst_sel:DWORD dst_unused:UNUSED_PAD src0_sel:WORD_0 src1_sel:DWORD
	v_mul_u32_u24_sdwa v65, v65, v71 dst_sel:DWORD dst_unused:UNUSED_PAD src0_sel:WORD_0 src1_sel:DWORD
	v_lshrrev_b32_e32 v71, 16, v26
	v_mul_u32_u24_sdwa v36, v64, v55 dst_sel:DWORD dst_unused:UNUSED_PAD src0_sel:BYTE_0 src1_sel:DWORD
	v_mul_u32_u24_sdwa v37, v66, v55 dst_sel:DWORD dst_unused:UNUSED_PAD src0_sel:BYTE_0 src1_sel:DWORD
	v_lshlrev_b32_sdwa v64, v43, v64 dst_sel:DWORD dst_unused:UNUSED_PAD src0_sel:DWORD src1_sel:BYTE_0
	v_lshlrev_b32_sdwa v43, v43, v66 dst_sel:DWORD dst_unused:UNUSED_PAD src0_sel:DWORD src1_sel:BYTE_0
	v_lshrrev_b32_e32 v66, 16, v15
	v_lshlrev_b32_e32 v36, 2, v36
	v_lshlrev_b32_e32 v37, 2, v37
	v_lshrrev_b32_e32 v76, 16, v24
	v_lshrrev_b32_e32 v67, 16, v20
	v_add3_u32 v63, 0, v63, v64
	s_clause 0x3
	global_load_dwordx4 v[51:54], v36, s[8:9] offset:208
	global_load_dwordx2 v[59:60], v36, s[8:9] offset:224
	global_load_dwordx4 v[55:58], v37, s[8:9] offset:208
	global_load_dwordx2 v[61:62], v37, s[8:9] offset:224
	v_sub_nc_u32_e32 v37, 0, v12
	v_lshrrev_b32_e32 v12, 16, v22
	v_sub_nc_u32_e32 v36, 0, v14
	v_add3_u32 v43, 0, v65, v43
	v_add_nc_u32_e32 v64, 0x200, v63
	s_waitcnt vmcnt(0) lgkmcnt(0)
	s_barrier
	buffer_gl0_inv
	v_add_nc_u32_e32 v65, 0x200, v43
	v_mul_f16_sdwa v85, v59, v75 dst_sel:DWORD dst_unused:UNUSED_PAD src0_sel:WORD_1 src1_sel:DWORD
	v_mul_f16_sdwa v77, v51, v70 dst_sel:DWORD dst_unused:UNUSED_PAD src0_sel:WORD_1 src1_sel:DWORD
	;; [unrolled: 1-line block ×16, first 2 shown]
	v_mul_f16_sdwa v97, v68, v61 dst_sel:DWORD dst_unused:UNUSED_PAD src0_sel:DWORD src1_sel:WORD_1
	v_mul_f16_sdwa v98, v18, v61 dst_sel:DWORD dst_unused:UNUSED_PAD src0_sel:DWORD src1_sel:WORD_1
	;; [unrolled: 1-line block ×8, first 2 shown]
	v_fmac_f16_e32 v77, v51, v25
	v_fma_f16 v25, v51, v70, -v78
	v_fmac_f16_e32 v79, v52, v23
	v_fma_f16 v23, v52, v72, -v80
	;; [unrolled: 2-line block ×12, first 2 shown]
	v_add_f16_e32 v22, v77, v87
	v_add_f16_e32 v51, v25, v15
	v_sub_f16_e32 v15, v25, v15
	v_add_f16_e32 v25, v79, v85
	v_add_f16_e32 v53, v23, v17
	v_sub_f16_e32 v54, v79, v85
	v_sub_f16_e32 v17, v23, v17
	v_add_f16_e32 v23, v81, v83
	v_add_f16_e32 v55, v21, v19
	v_sub_f16_e32 v56, v83, v81
	;; [unrolled: 4-line block ×3, first 2 shown]
	v_add_f16_e32 v26, v91, v97
	v_add_f16_e32 v59, v24, v18
	v_sub_f16_e32 v18, v24, v18
	v_add_f16_e32 v24, v93, v95
	v_add_f16_e32 v61, v12, v20
	v_sub_f16_e32 v12, v20, v12
	;; [unrolled: 3-line block ×3, first 2 shown]
	v_sub_f16_e32 v60, v91, v97
	v_sub_f16_e32 v62, v95, v93
	;; [unrolled: 1-line block ×8, first 2 shown]
	v_add_f16_e32 v69, v56, v54
	v_add_f16_e32 v70, v19, v17
	v_sub_f16_e32 v71, v56, v54
	v_sub_f16_e32 v72, v19, v17
	;; [unrolled: 1-line block ×3, first 2 shown]
	v_add_f16_e32 v73, v26, v21
	v_add_f16_e32 v74, v59, v57
	v_sub_f16_e32 v58, v89, v99
	v_sub_f16_e32 v75, v26, v21
	;; [unrolled: 1-line block ×3, first 2 shown]
	v_add_f16_e32 v78, v12, v18
	v_sub_f16_e32 v80, v12, v18
	v_sub_f16_e32 v18, v18, v16
	v_add_f16_e32 v20, v23, v20
	v_add_f16_e32 v23, v55, v66
	v_sub_f16_e32 v54, v54, v52
	v_sub_f16_e32 v56, v52, v56
	;; [unrolled: 1-line block ×7, first 2 shown]
	v_add_f16_e32 v77, v62, v60
	v_sub_f16_e32 v79, v62, v60
	v_add_f16_e32 v52, v69, v52
	v_add_f16_e32 v15, v70, v15
	v_mul_f16_e32 v22, 0x3a52, v22
	v_mul_f16_e32 v51, 0x3a52, v51
	;; [unrolled: 1-line block ×7, first 2 shown]
	v_add_f16_e32 v24, v24, v73
	v_add_f16_e32 v61, v61, v74
	v_sub_f16_e32 v12, v16, v12
	v_sub_f16_e32 v60, v60, v58
	v_add_f16_e32 v16, v78, v16
	v_mul_f16_e32 v73, 0x2b26, v26
	v_mul_f16_e32 v78, 0x3846, v80
	;; [unrolled: 1-line block ×3, first 2 shown]
	v_add_f16_e32 v81, v20, v50
	v_add_f16_sdwa v50, v23, v50 dst_sel:DWORD dst_unused:UNUSED_PAD src0_sel:DWORD src1_sel:WORD_1
	v_mul_f16_e32 v71, 0xbb00, v54
	v_sub_f16_e32 v62, v58, v62
	v_add_f16_e32 v58, v77, v58
	v_mul_f16_e32 v21, 0x3a52, v21
	v_mul_f16_e32 v57, 0x3a52, v57
	v_mul_f16_e32 v77, 0x3846, v79
	v_fmamk_f16 v25, v25, 0x2b26, v22
	v_fmamk_f16 v53, v53, 0x2b26, v51
	v_fma_f16 v55, v67, 0x39e0, -v55
	v_fma_f16 v66, v68, 0x39e0, -v66
	v_fma_f16 v22, v67, 0xb9e0, -v22
	v_fma_f16 v51, v68, 0xb9e0, -v51
	v_fmamk_f16 v67, v56, 0xb574, v69
	v_fmamk_f16 v68, v19, 0xb574, v70
	v_fma_f16 v54, v54, 0xbb00, -v69
	v_fma_f16 v17, v17, 0xbb00, -v70
	;; [unrolled: 1-line block ×3, first 2 shown]
	v_add_f16_e32 v69, v24, v49
	v_add_f16_sdwa v49, v61, v49 dst_sel:DWORD dst_unused:UNUSED_PAD src0_sel:DWORD src1_sel:WORD_1
	v_mul_f16_e32 v74, 0x2b26, v59
	v_mul_f16_e32 v79, 0xbb00, v60
	v_fma_f16 v70, v75, 0x39e0, -v73
	v_fmamk_f16 v73, v12, 0xb574, v78
	v_fma_f16 v18, v18, 0xbb00, -v78
	v_fma_f16 v12, v12, 0x3574, -v80
	v_fmamk_f16 v20, v20, 0xbcab, v81
	v_fmamk_f16 v23, v23, 0xbcab, v50
	v_fma_f16 v56, v56, 0x3574, -v71
	v_fmamk_f16 v26, v26, 0x2b26, v21
	v_fmamk_f16 v59, v59, 0x2b26, v57
	;; [unrolled: 1-line block ×3, first 2 shown]
	v_fmac_f16_e32 v68, 0xb70e, v15
	v_fmac_f16_e32 v17, 0xb70e, v15
	;; [unrolled: 1-line block ×3, first 2 shown]
	v_fmamk_f16 v15, v24, 0xbcab, v69
	v_fmamk_f16 v24, v61, 0xbcab, v49
	v_fma_f16 v71, v76, 0x39e0, -v74
	v_fma_f16 v21, v75, 0xb9e0, -v21
	;; [unrolled: 1-line block ×5, first 2 shown]
	v_fmac_f16_e32 v67, 0xb70e, v52
	v_fmac_f16_e32 v73, 0xb70e, v16
	;; [unrolled: 1-line block ×4, first 2 shown]
	v_pack_b32_f16 v16, v81, v50
	v_add_f16_e32 v25, v25, v20
	v_add_f16_e32 v50, v53, v23
	v_fmac_f16_e32 v54, 0xb70e, v52
	v_fmac_f16_e32 v56, 0xb70e, v52
	v_add_f16_e32 v52, v55, v20
	v_add_f16_e32 v53, v66, v23
	;; [unrolled: 1-line block ×4, first 2 shown]
	v_fmac_f16_e32 v72, 0xb70e, v58
	v_add_f16_e32 v23, v26, v15
	v_add_f16_e32 v26, v59, v24
	v_fmac_f16_e32 v60, 0xb70e, v58
	v_fmac_f16_e32 v62, 0xb70e, v58
	v_add_f16_e32 v51, v70, v15
	v_add_f16_e32 v55, v71, v24
	;; [unrolled: 1-line block ×5, first 2 shown]
	v_sub_f16_e32 v57, v50, v67
	v_add_f16_e32 v58, v19, v20
	v_sub_f16_e32 v59, v22, v56
	v_sub_f16_e32 v61, v52, v17
	v_add_f16_e32 v66, v54, v53
	v_add_f16_e32 v17, v17, v52
	v_sub_f16_e32 v52, v53, v54
	v_sub_f16_e32 v19, v20, v19
	v_add_f16_e32 v20, v56, v22
	v_sub_f16_e32 v22, v25, v68
	v_add_f16_e32 v25, v67, v50
	v_add_f16_e32 v50, v73, v23
	v_sub_f16_e32 v53, v26, v72
	v_add_f16_e32 v54, v12, v15
	v_sub_f16_e32 v56, v21, v62
	v_sub_f16_e32 v67, v51, v18
	v_add_f16_e32 v68, v60, v55
	v_add_f16_e32 v18, v18, v51
	v_sub_f16_e32 v51, v55, v60
	v_sub_f16_e32 v12, v15, v12
	v_add_f16_e32 v15, v62, v21
	v_sub_f16_e32 v21, v23, v73
	v_add_f16_e32 v23, v72, v26
	v_pack_b32_f16 v24, v24, v57
	v_pack_b32_f16 v26, v58, v59
	;; [unrolled: 1-line block ×13, first 2 shown]
	ds_write2_b32 v63, v16, v24 offset1:54
	ds_write2_b32 v63, v26, v55 offset0:108 offset1:162
	ds_write2_b32 v64, v17, v19 offset0:88 offset1:142
	ds_write_b32 v63, v20 offset:1296
	ds_write2_b32 v43, v49, v22 offset1:54
	ds_write2_b32 v43, v25, v50 offset0:108 offset1:162
	ds_write2_b32 v65, v18, v12 offset0:88 offset1:142
	ds_write_b32 v43, v15 offset:1296
	s_and_saveexec_b32 s4, s1
	s_cbranch_execz .LBB0_19
; %bb.18:
	v_lshrrev_b16 v12, 1, v10
	v_mov_b32_e32 v15, 0x97b5
	v_lshrrev_b32_e32 v21, 16, v32
	v_mul_u32_u24_sdwa v12, v12, v15 dst_sel:DWORD dst_unused:UNUSED_PAD src0_sel:WORD_0 src1_sel:DWORD
	v_lshrrev_b32_e32 v12, 20, v12
	v_mul_lo_u16 v12, v12, 54
	v_sub_nc_u16 v12, v10, v12
	v_and_b32_e32 v12, 0xffff, v12
	v_mul_u32_u24_e32 v15, 6, v12
	v_lshl_add_u32 v12, v12, 2, 0
	v_lshlrev_b32_e32 v19, 2, v15
	v_add_nc_u32_e32 v22, 0x1600, v12
	v_add_nc_u32_e32 v23, 0x1800, v12
	s_clause 0x1
	global_load_dwordx4 v[15:18], v19, s[8:9] offset:208
	global_load_dwordx2 v[19:20], v19, s[8:9] offset:224
	s_waitcnt vmcnt(1)
	v_mul_f16_sdwa v24, v21, v15 dst_sel:DWORD dst_unused:UNUSED_PAD src0_sel:DWORD src1_sel:WORD_1
	s_waitcnt vmcnt(0)
	v_mul_f16_sdwa v25, v48, v20 dst_sel:DWORD dst_unused:UNUSED_PAD src0_sel:DWORD src1_sel:WORD_1
	v_mul_f16_sdwa v26, v42, v18 dst_sel:DWORD dst_unused:UNUSED_PAD src0_sel:DWORD src1_sel:WORD_1
	;; [unrolled: 1-line block ×11, first 2 shown]
	v_fmac_f16_e32 v24, v32, v15
	v_fmac_f16_e32 v25, v46, v20
	;; [unrolled: 1-line block ×6, first 2 shown]
	v_fma_f16 v20, v48, v20, -v51
	v_fma_f16 v15, v21, v15, -v52
	;; [unrolled: 1-line block ×6, first 2 shown]
	v_sub_f16_e32 v21, v24, v25
	v_sub_f16_e32 v32, v26, v43
	;; [unrolled: 1-line block ×3, first 2 shown]
	v_add_f16_e32 v39, v15, v20
	v_add_f16_e32 v40, v17, v18
	;; [unrolled: 1-line block ×6, first 2 shown]
	v_sub_f16_e32 v15, v15, v20
	v_sub_f16_e32 v17, v18, v17
	;; [unrolled: 1-line block ×5, first 2 shown]
	v_add_f16_e32 v20, v32, v38
	v_sub_f16_e32 v32, v39, v40
	v_add_f16_e32 v43, v41, v39
	v_add_f16_e32 v46, v26, v24
	v_sub_f16_e32 v44, v24, v25
	v_sub_f16_e32 v45, v25, v26
	;; [unrolled: 1-line block ×4, first 2 shown]
	v_add_f16_e32 v17, v17, v16
	v_sub_f16_e32 v38, v38, v21
	v_sub_f16_e32 v16, v16, v15
	v_add_f16_e32 v20, v20, v21
	v_mul_f16_e32 v21, 0x3a52, v32
	v_add_f16_e32 v32, v40, v43
	v_add_f16_e32 v25, v25, v46
	v_sub_f16_e32 v42, v40, v41
	v_sub_f16_e32 v39, v41, v39
	;; [unrolled: 1-line block ×3, first 2 shown]
	v_mul_f16_e32 v19, 0x3846, v19
	v_mul_f16_e32 v40, 0x3a52, v44
	v_mul_f16_e32 v43, 0x3846, v48
	v_add_f16_e32 v15, v17, v15
	v_mul_f16_e32 v17, 0xbb00, v38
	v_mul_f16_e32 v44, 0xbb00, v16
	v_add_f16_e32 v34, v34, v32
	v_add_f16_e32 v35, v35, v25
	v_mul_f16_e32 v26, 0x2b26, v42
	v_mul_f16_e32 v41, 0x2b26, v45
	v_fmamk_f16 v46, v18, 0xb574, v19
	v_fmamk_f16 v42, v42, 0x2b26, v21
	;; [unrolled: 1-line block ×4, first 2 shown]
	v_fma_f16 v17, v18, 0x3574, -v17
	v_fma_f16 v18, v39, 0xb9e0, -v21
	;; [unrolled: 1-line block ×6, first 2 shown]
	v_fmamk_f16 v32, v32, 0xbcab, v34
	v_fmamk_f16 v25, v25, 0xbcab, v35
	v_fma_f16 v26, v39, 0x39e0, -v26
	v_fma_f16 v24, v24, 0x39e0, -v41
	v_fmac_f16_e32 v46, 0xb70e, v20
	v_fmac_f16_e32 v48, 0xb70e, v15
	;; [unrolled: 1-line block ×6, first 2 shown]
	v_pack_b32_f16 v15, v35, v34
	v_add_f16_e32 v20, v42, v32
	v_add_f16_e32 v34, v45, v25
	v_add_f16_e32 v18, v18, v32
	v_add_f16_e32 v21, v21, v25
	v_add_f16_e32 v26, v26, v32
	v_add_f16_e32 v24, v24, v25
	v_add_f16_e32 v25, v46, v20
	v_add_f16_e32 v35, v17, v18
	v_sub_f16_e32 v17, v18, v17
	v_sub_f16_e32 v18, v20, v46
	v_add_f16_e32 v20, v48, v34
	v_sub_f16_e32 v32, v34, v48
	v_sub_f16_e32 v38, v26, v19
	v_add_f16_e32 v19, v19, v26
	v_add_f16_e32 v26, v40, v21
	v_sub_f16_e32 v34, v24, v16
	v_add_f16_e32 v16, v16, v24
	v_sub_f16_e32 v21, v21, v40
	v_pack_b32_f16 v18, v20, v18
	v_pack_b32_f16 v17, v26, v17
	v_pack_b32_f16 v19, v34, v19
	v_pack_b32_f16 v16, v16, v38
	v_pack_b32_f16 v20, v21, v35
	v_pack_b32_f16 v21, v32, v25
	ds_write2_b32 v22, v15, v18 offset0:104 offset1:158
	ds_write2_b32 v23, v17, v19 offset0:84 offset1:138
	;; [unrolled: 1-line block ×3, first 2 shown]
	ds_write_b32 v12, v21 offset:7344
.LBB0_19:
	s_or_b32 exec_lo, exec_lo, s4
	v_mov_b32_e32 v12, 0
	s_waitcnt lgkmcnt(0)
	s_barrier
	buffer_gl0_inv
	v_add_nc_u32_e32 v44, 0x1400, v27
	v_lshlrev_b64 v[15:16], 2, v[11:12]
	v_add_nc_u32_e32 v42, 0x600, v27
	ds_read_b32 v26, v27
	s_add_u32 s4, s8, 0x1d80
	s_addc_u32 s5, s9, 0
	s_mov_b32 s6, exec_lo
	v_add_co_u32 v17, s1, s8, v15
	v_mov_b32_e32 v15, v12
	v_add_co_ci_u32_e64 v18, s1, s9, v16, s1
	v_lshlrev_b64 v[15:16], 2, v[14:15]
	v_mov_b32_e32 v14, v12
	global_load_dwordx4 v[18:21], v[17:18], off offset:1504
	v_add_nc_u32_e32 v17, 0x1000, v27
	v_lshlrev_b64 v[13:14], 2, v[13:14]
	v_add_co_u32 v15, s1, s8, v15
	v_add_co_ci_u32_e64 v16, s1, s9, v16, s1
	v_add_co_u32 v13, s1, s8, v13
	v_add_co_ci_u32_e64 v14, s1, s9, v14, s1
	s_clause 0x1
	global_load_dwordx4 v[22:25], v[15:16], off offset:1504
	global_load_dwordx4 v[38:41], v[13:14], off offset:1504
	v_add_nc_u32_e32 v15, v1, v36
	v_add_nc_u32_e32 v14, v31, v37
	;; [unrolled: 1-line block ×4, first 2 shown]
	v_lshl_add_u32 v13, v6, 2, 0
	ds_read_b32 v1, v33
	ds_read_b32 v16, v15
	ds_read2_b32 v[31:32], v31 offset0:114 offset1:240
	ds_read2_b32 v[34:35], v17 offset0:110 offset1:236
	;; [unrolled: 1-line block ×5, first 2 shown]
	ds_read_b32 v46, v14
	ds_read_b32 v47, v13
	ds_read_u16 v48, v27 offset:2018
	s_waitcnt lgkmcnt(10)
	v_lshrrev_b32_e32 v49, 16, v26
	s_waitcnt vmcnt(0) lgkmcnt(0)
	s_barrier
	buffer_gl0_inv
	v_lshrrev_b32_e32 v50, 16, v16
	v_lshrrev_b32_e32 v51, 16, v31
	;; [unrolled: 1-line block ×13, first 2 shown]
	v_mul_f16_sdwa v62, v18, v57 dst_sel:DWORD dst_unused:UNUSED_PAD src0_sel:WORD_1 src1_sel:DWORD
	v_mul_f16_sdwa v63, v18, v46 dst_sel:DWORD dst_unused:UNUSED_PAD src0_sel:WORD_1 src1_sel:DWORD
	;; [unrolled: 1-line block ×8, first 2 shown]
	v_fmac_f16_e32 v62, v18, v46
	v_fma_f16 v18, v18, v57, -v63
	v_fmac_f16_e32 v64, v19, v47
	v_fma_f16 v19, v19, v59, -v65
	;; [unrolled: 2-line block ×4, first 2 shown]
	v_mul_f16_sdwa v34, v48, v22 dst_sel:DWORD dst_unused:UNUSED_PAD src0_sel:DWORD src1_sel:WORD_1
	v_mul_f16_sdwa v45, v22, v42 dst_sel:DWORD dst_unused:UNUSED_PAD src0_sel:WORD_1 src1_sel:DWORD
	v_mul_f16_sdwa v46, v51, v23 dst_sel:DWORD dst_unused:UNUSED_PAD src0_sel:DWORD src1_sel:WORD_1
	v_mul_f16_sdwa v47, v31, v23 dst_sel:DWORD dst_unused:UNUSED_PAD src0_sel:DWORD src1_sel:WORD_1
	;; [unrolled: 1-line block ×14, first 2 shown]
	v_fmac_f16_e32 v34, v22, v42
	v_fma_f16 v22, v48, v22, -v45
	v_fmac_f16_e32 v46, v31, v23
	v_fma_f16 v23, v51, v23, -v47
	;; [unrolled: 2-line block ×6, first 2 shown]
	v_fmac_f16_e32 v70, v44, v40
	v_fmac_f16_e32 v72, v37, v41
	v_fma_f16 v36, v58, v41, -v73
	v_add_f16_e32 v37, v26, v62
	v_add_f16_e32 v38, v64, v66
	v_sub_f16_e32 v41, v62, v64
	v_sub_f16_e32 v42, v68, v66
	v_add_f16_e32 v43, v62, v68
	v_sub_f16_e32 v44, v64, v62
	v_sub_f16_e32 v45, v66, v68
	v_add_f16_e32 v47, v49, v18
	v_add_f16_e32 v48, v19, v20
	v_sub_f16_e32 v53, v18, v19
	v_sub_f16_e32 v54, v21, v20
	v_add_f16_e32 v55, v18, v21
	v_fma_f16 v35, v56, v40, -v71
	v_sub_f16_e32 v39, v18, v21
	v_sub_f16_e32 v18, v19, v18
	;; [unrolled: 1-line block ×5, first 2 shown]
	v_add_f16_e32 v37, v37, v64
	v_fma_f16 v38, -0.5, v38, v26
	v_add_f16_e32 v41, v41, v42
	v_fmac_f16_e32 v26, -0.5, v43
	v_add_f16_e32 v42, v44, v45
	v_add_f16_e32 v19, v47, v19
	v_fma_f16 v43, -0.5, v48, v49
	v_add_f16_e32 v44, v53, v54
	v_fmac_f16_e32 v49, -0.5, v55
	v_add_f16_e32 v45, v16, v34
	v_add_f16_e32 v47, v46, v57
	v_sub_f16_e32 v54, v34, v46
	v_sub_f16_e32 v55, v60, v57
	v_add_f16_e32 v61, v50, v22
	v_add_f16_e32 v62, v23, v24
	v_sub_f16_e32 v52, v64, v66
	v_add_f16_e32 v18, v18, v56
	v_add_f16_e32 v56, v34, v60
	;; [unrolled: 1-line block ×3, first 2 shown]
	v_sub_f16_e32 v48, v22, v25
	v_sub_f16_e32 v53, v23, v24
	;; [unrolled: 1-line block ×9, first 2 shown]
	v_add_f16_e32 v74, v1, v63
	v_add_f16_e32 v75, v67, v70
	;; [unrolled: 1-line block ×7, first 2 shown]
	v_fmamk_f16 v66, v39, 0xbb9c, v38
	v_fmamk_f16 v90, v40, 0x3b9c, v26
	v_fmac_f16_e32 v26, 0xbb9c, v40
	v_add_f16_e32 v19, v19, v20
	v_fmamk_f16 v20, v51, 0x3b9c, v43
	v_add_f16_e32 v45, v45, v46
	v_fma_f16 v46, -0.5, v47, v16
	v_add_f16_e32 v47, v54, v55
	v_add_f16_e32 v23, v61, v23
	v_fma_f16 v55, -0.5, v62, v50
	v_fmac_f16_e32 v38, 0x3b9c, v39
	v_fmamk_f16 v91, v52, 0xbb9c, v49
	v_fmac_f16_e32 v16, -0.5, v56
	v_fmac_f16_e32 v50, -0.5, v71
	v_fmac_f16_e32 v49, 0x3b9c, v52
	v_fmac_f16_e32 v43, 0xbb9c, v51
	v_sub_f16_e32 v73, v24, v25
	v_sub_f16_e32 v76, v31, v36
	;; [unrolled: 1-line block ×9, first 2 shown]
	v_add_f16_e32 v54, v58, v59
	v_add_f16_e32 v56, v65, v69
	;; [unrolled: 1-line block ×3, first 2 shown]
	v_fma_f16 v59, -0.5, v75, v1
	v_fmac_f16_e32 v1, -0.5, v80
	v_add_f16_e32 v32, v83, v32
	v_fma_f16 v65, -0.5, v84, v17
	v_fmac_f16_e32 v17, -0.5, v88
	v_add_f16_e32 v37, v37, v68
	v_fmac_f16_e32 v66, 0xb8b4, v40
	v_fmac_f16_e32 v90, 0xb8b4, v39
	;; [unrolled: 1-line block ×3, first 2 shown]
	v_add_f16_e32 v19, v19, v21
	v_fmac_f16_e32 v20, 0x38b4, v52
	v_fmamk_f16 v39, v48, 0xbb9c, v46
	v_add_f16_e32 v23, v23, v24
	v_fmamk_f16 v24, v34, 0x3b9c, v55
	v_fmac_f16_e32 v38, 0x38b4, v40
	v_fmac_f16_e32 v91, 0x38b4, v51
	v_add_f16_e32 v21, v45, v57
	v_fmamk_f16 v40, v53, 0x3b9c, v16
	v_fmamk_f16 v45, v64, 0xbb9c, v50
	v_fmac_f16_e32 v49, 0xb8b4, v51
	v_fmac_f16_e32 v16, 0xbb9c, v53
	;; [unrolled: 1-line block ×6, first 2 shown]
	v_sub_f16_e32 v79, v72, v70
	v_sub_f16_e32 v82, v70, v72
	;; [unrolled: 1-line block ×4, first 2 shown]
	v_add_f16_e32 v51, v58, v70
	v_fmamk_f16 v52, v76, 0xbb9c, v59
	v_fmac_f16_e32 v59, 0x3b9c, v76
	v_fmamk_f16 v57, v77, 0x3b9c, v1
	v_fmac_f16_e32 v1, 0xbb9c, v77
	v_add_f16_e32 v32, v32, v35
	v_fmamk_f16 v35, v63, 0x3b9c, v65
	v_fmac_f16_e32 v65, 0xbb9c, v63
	v_fmamk_f16 v58, v85, 0xbb9c, v17
	v_fmac_f16_e32 v17, 0x3b9c, v85
	v_fmac_f16_e32 v66, 0x34f2, v41
	;; [unrolled: 1-line block ×5, first 2 shown]
	v_pack_b32_f16 v19, v37, v19
	v_add_f16_e32 v22, v22, v73
	v_fmac_f16_e32 v90, 0x34f2, v42
	v_fmac_f16_e32 v91, 0x34f2, v18
	;; [unrolled: 1-line block ×12, first 2 shown]
	v_add_f16_e32 v18, v21, v60
	v_add_f16_e32 v21, v23, v25
	;; [unrolled: 1-line block ×6, first 2 shown]
	v_fmac_f16_e32 v52, 0xb8b4, v77
	v_fmac_f16_e32 v59, 0x38b4, v77
	;; [unrolled: 1-line block ×10, first 2 shown]
	ds_write_b32 v27, v19
	v_pack_b32_f16 v19, v66, v20
	v_fmac_f16_e32 v40, 0x34f2, v54
	v_fmac_f16_e32 v45, 0x34f2, v22
	v_pack_b32_f16 v20, v90, v91
	v_fmac_f16_e32 v16, 0x34f2, v54
	v_fmac_f16_e32 v50, 0x34f2, v22
	;; [unrolled: 3-line block ×3, first 2 shown]
	v_pack_b32_f16 v26, v38, v43
	v_add_f16_e32 v23, v51, v72
	v_add_f16_e32 v25, v32, v36
	v_pack_b32_f16 v18, v18, v21
	v_fmac_f16_e32 v52, 0x34f2, v61
	v_fmac_f16_e32 v59, 0x34f2, v61
	;; [unrolled: 1-line block ×8, first 2 shown]
	ds_write_b32 v27, v19 offset:1512
	ds_write_b32 v27, v20 offset:3024
	;; [unrolled: 1-line block ×4, first 2 shown]
	ds_write_b32 v15, v18
	v_pack_b32_f16 v18, v39, v24
	v_pack_b32_f16 v19, v40, v45
	;; [unrolled: 1-line block ×9, first 2 shown]
	ds_write_b32 v15, v18 offset:1512
	ds_write_b32 v15, v19 offset:3024
	;; [unrolled: 1-line block ×4, first 2 shown]
	ds_write_b32 v33, v21
	ds_write_b32 v33, v22 offset:1512
	ds_write_b32 v33, v23 offset:3024
	;; [unrolled: 1-line block ×4, first 2 shown]
	s_waitcnt lgkmcnt(0)
	s_barrier
	buffer_gl0_inv
	ds_read_b32 v20, v27
	v_sub_nc_u32_e32 v16, 0, v11
                                        ; implicit-def: $vgpr19
                                        ; implicit-def: $vgpr18
                                        ; implicit-def: $vgpr17
	v_cmpx_ne_u32_e32 0, v0
	s_xor_b32 s6, exec_lo, s6
	s_cbranch_execz .LBB0_21
; %bb.20:
	v_mov_b32_e32 v1, v12
	v_lshlrev_b64 v[11:12], 2, v[0:1]
	v_add_co_u32 v11, s1, s4, v11
	v_add_co_ci_u32_e64 v12, s1, s5, v12, s1
	global_load_dword v1, v[11:12], off
	ds_read_b32 v11, v16 offset:7560
	s_waitcnt lgkmcnt(0)
	v_sub_f16_e32 v12, v20, v11
	v_add_f16_sdwa v17, v11, v20 dst_sel:DWORD dst_unused:UNUSED_PAD src0_sel:WORD_1 src1_sel:WORD_1
	v_sub_f16_sdwa v18, v20, v11 dst_sel:DWORD dst_unused:UNUSED_PAD src0_sel:WORD_1 src1_sel:WORD_1
	v_add_f16_e32 v11, v11, v20
	v_mul_f16_e32 v12, 0.5, v12
	v_mul_f16_e32 v20, 0.5, v17
	;; [unrolled: 1-line block ×3, first 2 shown]
	s_waitcnt vmcnt(0)
	v_lshrrev_b32_e32 v19, 16, v1
	v_mul_f16_e32 v18, v19, v12
	v_fma_f16 v21, v20, v19, v17
	v_fma_f16 v19, v20, v19, -v17
	v_fma_f16 v22, 0.5, v11, v18
	v_fma_f16 v11, v11, 0.5, -v18
	v_fma_f16 v17, -v1, v12, v21
	v_fma_f16 v19, -v1, v12, v19
	v_fmac_f16_e32 v22, v1, v20
	v_fma_f16 v18, -v1, v20, v11
                                        ; implicit-def: $vgpr20
	ds_write_b16 v27, v22
.LBB0_21:
	s_or_saveexec_b32 s1, s6
	v_sub_nc_u32_e32 v1, 0, v30
	v_sub_nc_u32_e32 v12, 0, v5
	s_xor_b32 exec_lo, exec_lo, s1
	s_cbranch_execz .LBB0_23
; %bb.22:
	v_mov_b32_e32 v17, 0
	s_waitcnt lgkmcnt(0)
	v_add_f16_sdwa v11, v20, v20 dst_sel:DWORD dst_unused:UNUSED_PAD src0_sel:WORD_1 src1_sel:DWORD
	v_sub_f16_sdwa v18, v20, v20 dst_sel:DWORD dst_unused:UNUSED_PAD src0_sel:DWORD src1_sel:WORD_1
	v_mov_b32_e32 v19, 0
	ds_read_u16 v5, v17 offset:3782
	s_waitcnt lgkmcnt(0)
	v_xor_b32_e32 v5, 0x8000, v5
	ds_write_b16 v27, v11
	ds_write_b16 v17, v5 offset:3782
.LBB0_23:
	s_or_b32 exec_lo, exec_lo, s1
	v_mov_b32_e32 v5, 0
	v_perm_b32 v18, v19, v18, 0x5040100
	v_add_nc_u32_e32 v1, v28, v1
	s_waitcnt lgkmcnt(0)
	v_lshlrev_b64 v[20:21], 2, v[4:5]
	v_mov_b32_e32 v11, v5
	v_lshlrev_b64 v[10:11], 2, v[10:11]
	v_add_co_u32 v20, s1, s4, v20
	v_add_co_ci_u32_e64 v21, s1, s5, v21, s1
	v_add_co_u32 v10, s1, s4, v10
	global_load_dword v4, v[20:21], off
	v_add_co_ci_u32_e64 v11, s1, s5, v11, s1
	global_load_dword v11, v[10:11], off
	v_mov_b32_e32 v10, v5
	v_lshlrev_b64 v[9:10], 2, v[9:10]
	v_add_co_u32 v9, s1, s4, v9
	v_add_co_ci_u32_e64 v10, s1, s5, v10, s1
	global_load_dword v10, v[9:10], off
	v_mov_b32_e32 v9, v5
	v_lshlrev_b64 v[8:9], 2, v[8:9]
	v_add_co_u32 v8, s1, s4, v8
	;; [unrolled: 5-line block ×3, first 2 shown]
	v_add_co_ci_u32_e64 v8, s1, s5, v8, s1
	global_load_dword v8, v[7:8], off
	v_mov_b32_e32 v7, v5
	ds_write_b16 v27, v17 offset:2
	ds_write_b32 v16, v18 offset:7560
	ds_read_b32 v17, v15
	ds_read_b32 v18, v16 offset:7056
	v_lshlrev_b64 v[6:7], 2, v[6:7]
	v_add_co_u32 v6, s1, s4, v6
	v_add_co_ci_u32_e64 v7, s1, s5, v7, s1
	global_load_dword v6, v[6:7], off
	s_waitcnt lgkmcnt(0)
	v_pk_add_f16 v7, v17, v18 neg_lo:[0,1] neg_hi:[0,1]
	v_pk_add_f16 v17, v17, v18
	v_bfi_b32 v18, 0xffff, v7, v17
	v_bfi_b32 v7, 0xffff, v17, v7
	v_pk_mul_f16 v17, v18, 0.5 op_sel_hi:[1,0]
	v_pk_mul_f16 v7, v7, 0.5 op_sel_hi:[1,0]
	s_waitcnt vmcnt(5)
	v_pk_fma_f16 v18, v4, v17, v7 op_sel:[1,0,0]
	v_pk_mul_f16 v19, v4, v17 op_sel_hi:[0,1]
	v_pk_fma_f16 v20, v4, v17, v7 op_sel:[1,0,0] neg_lo:[1,0,0] neg_hi:[1,0,0]
	v_pk_fma_f16 v4, v4, v17, v7 op_sel:[1,0,0] neg_lo:[0,0,1] neg_hi:[0,0,1]
	v_pk_add_f16 v7, v18, v19 op_sel:[0,1] op_sel_hi:[1,0]
	v_pk_add_f16 v17, v18, v19 op_sel:[0,1] op_sel_hi:[1,0] neg_lo:[0,1] neg_hi:[0,1]
	v_pk_add_f16 v18, v20, v19 op_sel:[0,1] op_sel_hi:[1,0] neg_lo:[0,1] neg_hi:[0,1]
	;; [unrolled: 1-line block ×3, first 2 shown]
	v_bfi_b32 v7, 0xffff, v7, v17
	v_bfi_b32 v4, 0xffff, v18, v4
	ds_write_b32 v15, v7
	ds_write_b32 v16, v4 offset:7056
	ds_read_b32 v4, v33
	ds_read_b32 v7, v16 offset:6552
	s_waitcnt lgkmcnt(0)
	v_pk_add_f16 v15, v4, v7 neg_lo:[0,1] neg_hi:[0,1]
	v_pk_add_f16 v4, v4, v7
	v_bfi_b32 v7, 0xffff, v15, v4
	v_bfi_b32 v4, 0xffff, v4, v15
	v_pk_mul_f16 v7, v7, 0.5 op_sel_hi:[1,0]
	v_pk_mul_f16 v4, v4, 0.5 op_sel_hi:[1,0]
	s_waitcnt vmcnt(4)
	v_pk_mul_f16 v17, v11, v7 op_sel_hi:[0,1]
	v_pk_fma_f16 v15, v11, v7, v4 op_sel:[1,0,0]
	v_pk_fma_f16 v18, v11, v7, v4 op_sel:[1,0,0] neg_lo:[1,0,0] neg_hi:[1,0,0]
	v_pk_fma_f16 v4, v11, v7, v4 op_sel:[1,0,0] neg_lo:[0,0,1] neg_hi:[0,0,1]
	v_pk_add_f16 v7, v15, v17 op_sel:[0,1] op_sel_hi:[1,0]
	v_pk_add_f16 v11, v15, v17 op_sel:[0,1] op_sel_hi:[1,0] neg_lo:[0,1] neg_hi:[0,1]
	v_pk_add_f16 v15, v18, v17 op_sel:[0,1] op_sel_hi:[1,0] neg_lo:[0,1] neg_hi:[0,1]
	;; [unrolled: 1-line block ×3, first 2 shown]
	v_bfi_b32 v7, 0xffff, v7, v11
	v_bfi_b32 v4, 0xffff, v15, v4
	ds_write_b32 v33, v7
	ds_write_b32 v16, v4 offset:6552
	ds_read_b32 v4, v14
	ds_read_b32 v7, v16 offset:6048
	s_waitcnt lgkmcnt(0)
	v_pk_add_f16 v11, v4, v7 neg_lo:[0,1] neg_hi:[0,1]
	v_pk_add_f16 v4, v4, v7
	v_bfi_b32 v7, 0xffff, v11, v4
	v_bfi_b32 v4, 0xffff, v4, v11
	v_pk_mul_f16 v7, v7, 0.5 op_sel_hi:[1,0]
	v_pk_mul_f16 v4, v4, 0.5 op_sel_hi:[1,0]
	s_waitcnt vmcnt(3)
	v_pk_mul_f16 v15, v10, v7 op_sel_hi:[0,1]
	v_pk_fma_f16 v11, v10, v7, v4 op_sel:[1,0,0]
	v_pk_fma_f16 v17, v10, v7, v4 op_sel:[1,0,0] neg_lo:[1,0,0] neg_hi:[1,0,0]
	v_pk_fma_f16 v4, v10, v7, v4 op_sel:[1,0,0] neg_lo:[0,0,1] neg_hi:[0,0,1]
	v_pk_add_f16 v7, v11, v15 op_sel:[0,1] op_sel_hi:[1,0]
	v_pk_add_f16 v10, v11, v15 op_sel:[0,1] op_sel_hi:[1,0] neg_lo:[0,1] neg_hi:[0,1]
	v_pk_add_f16 v11, v17, v15 op_sel:[0,1] op_sel_hi:[1,0] neg_lo:[0,1] neg_hi:[0,1]
	v_pk_add_f16 v4, v4, v15 op_sel:[0,1] op_sel_hi:[1,0] neg_lo:[0,1] neg_hi:[0,1]
	v_bfi_b32 v7, 0xffff, v7, v10
	v_add_nc_u32_e32 v10, v29, v12
	v_bfi_b32 v4, 0xffff, v11, v4
	ds_write_b32 v14, v7
	ds_write_b32 v16, v4 offset:6048
	ds_read_b32 v4, v10
	ds_read_b32 v7, v16 offset:5544
	s_waitcnt lgkmcnt(0)
	v_pk_add_f16 v11, v4, v7 neg_lo:[0,1] neg_hi:[0,1]
	v_pk_add_f16 v4, v4, v7
	v_bfi_b32 v7, 0xffff, v11, v4
	v_bfi_b32 v4, 0xffff, v4, v11
	v_pk_mul_f16 v7, v7, 0.5 op_sel_hi:[1,0]
	v_pk_mul_f16 v4, v4, 0.5 op_sel_hi:[1,0]
	s_waitcnt vmcnt(2)
	v_pk_mul_f16 v12, v9, v7 op_sel_hi:[0,1]
	v_pk_fma_f16 v11, v9, v7, v4 op_sel:[1,0,0]
	v_pk_fma_f16 v14, v9, v7, v4 op_sel:[1,0,0] neg_lo:[1,0,0] neg_hi:[1,0,0]
	v_pk_fma_f16 v4, v9, v7, v4 op_sel:[1,0,0] neg_lo:[0,0,1] neg_hi:[0,0,1]
	v_pk_add_f16 v7, v11, v12 op_sel:[0,1] op_sel_hi:[1,0]
	v_pk_add_f16 v9, v11, v12 op_sel:[0,1] op_sel_hi:[1,0] neg_lo:[0,1] neg_hi:[0,1]
	v_pk_add_f16 v11, v14, v12 op_sel:[0,1] op_sel_hi:[1,0] neg_lo:[0,1] neg_hi:[0,1]
	v_pk_add_f16 v4, v4, v12 op_sel:[0,1] op_sel_hi:[1,0] neg_lo:[0,1] neg_hi:[0,1]
	v_bfi_b32 v7, 0xffff, v7, v9
	v_bfi_b32 v4, 0xffff, v11, v4
	ds_write_b32 v10, v7
	ds_write_b32 v16, v4 offset:5544
	ds_read_b32 v4, v1
	ds_read_b32 v7, v16 offset:5040
	s_waitcnt lgkmcnt(0)
	v_pk_add_f16 v9, v4, v7 neg_lo:[0,1] neg_hi:[0,1]
	v_pk_add_f16 v4, v4, v7
	v_bfi_b32 v7, 0xffff, v9, v4
	v_bfi_b32 v4, 0xffff, v4, v9
	v_pk_mul_f16 v7, v7, 0.5 op_sel_hi:[1,0]
	v_pk_mul_f16 v4, v4, 0.5 op_sel_hi:[1,0]
	s_waitcnt vmcnt(1)
	v_pk_mul_f16 v10, v8, v7 op_sel_hi:[0,1]
	v_pk_fma_f16 v9, v8, v7, v4 op_sel:[1,0,0]
	v_pk_fma_f16 v11, v8, v7, v4 op_sel:[1,0,0] neg_lo:[1,0,0] neg_hi:[1,0,0]
	v_pk_fma_f16 v4, v8, v7, v4 op_sel:[1,0,0] neg_lo:[0,0,1] neg_hi:[0,0,1]
	v_pk_add_f16 v7, v9, v10 op_sel:[0,1] op_sel_hi:[1,0]
	v_pk_add_f16 v8, v9, v10 op_sel:[0,1] op_sel_hi:[1,0] neg_lo:[0,1] neg_hi:[0,1]
	v_pk_add_f16 v9, v11, v10 op_sel:[0,1] op_sel_hi:[1,0] neg_lo:[0,1] neg_hi:[0,1]
	v_pk_add_f16 v4, v4, v10 op_sel:[0,1] op_sel_hi:[1,0] neg_lo:[0,1] neg_hi:[0,1]
	v_bfi_b32 v7, 0xffff, v7, v8
	;; [unrolled: 22-line block ×3, first 2 shown]
	v_bfi_b32 v1, 0xffff, v7, v1
	ds_write_b32 v13, v4
	ds_write_b32 v16, v1 offset:4536
	s_and_saveexec_b32 s1, s0
	s_cbranch_execz .LBB0_25
; %bb.24:
	v_add_nc_u32_e32 v4, 0x372, v0
	v_lshlrev_b64 v[4:5], 2, v[4:5]
	v_add_co_u32 v4, s0, s4, v4
	v_add_co_ci_u32_e64 v5, s0, s5, v5, s0
	global_load_dword v1, v[4:5], off
	ds_read_b32 v4, v27 offset:3528
	ds_read_b32 v5, v16 offset:4032
	s_waitcnt lgkmcnt(0)
	v_pk_add_f16 v6, v4, v5 neg_lo:[0,1] neg_hi:[0,1]
	v_pk_add_f16 v4, v4, v5
	v_bfi_b32 v5, 0xffff, v6, v4
	v_bfi_b32 v4, 0xffff, v4, v6
	v_pk_mul_f16 v5, v5, 0.5 op_sel_hi:[1,0]
	v_pk_mul_f16 v4, v4, 0.5 op_sel_hi:[1,0]
	s_waitcnt vmcnt(0)
	v_pk_fma_f16 v6, v1, v5, v4 op_sel:[1,0,0]
	v_pk_mul_f16 v7, v1, v5 op_sel_hi:[0,1]
	v_pk_fma_f16 v8, v1, v5, v4 op_sel:[1,0,0] neg_lo:[1,0,0] neg_hi:[1,0,0]
	v_pk_fma_f16 v1, v1, v5, v4 op_sel:[1,0,0] neg_lo:[0,0,1] neg_hi:[0,0,1]
	v_pk_add_f16 v4, v6, v7 op_sel:[0,1] op_sel_hi:[1,0]
	v_pk_add_f16 v5, v6, v7 op_sel:[0,1] op_sel_hi:[1,0] neg_lo:[0,1] neg_hi:[0,1]
	v_pk_add_f16 v6, v8, v7 op_sel:[0,1] op_sel_hi:[1,0] neg_lo:[0,1] neg_hi:[0,1]
	;; [unrolled: 1-line block ×3, first 2 shown]
	v_bfi_b32 v4, 0xffff, v4, v5
	v_bfi_b32 v1, 0xffff, v6, v1
	ds_write_b32 v27, v4 offset:3528
	ds_write_b32 v16, v1 offset:4032
.LBB0_25:
	s_or_b32 exec_lo, exec_lo, s1
	s_waitcnt lgkmcnt(0)
	s_barrier
	buffer_gl0_inv
	s_and_saveexec_b32 s0, vcc_lo
	s_cbranch_execz .LBB0_28
; %bb.26:
	v_add_nc_u32_e32 v6, 0x200, v27
	v_add_nc_u32_e32 v8, 0x600, v27
	v_mov_b32_e32 v1, 0
	v_add_co_u32 v2, vcc_lo, s2, v2
	ds_read2_b32 v[4:5], v27 offset1:126
	ds_read2_b32 v[6:7], v6 offset0:124 offset1:250
	ds_read2_b32 v[8:9], v8 offset0:120 offset1:246
	v_add_co_ci_u32_e32 v3, vcc_lo, s3, v3, vcc_lo
	v_lshlrev_b64 v[10:11], 2, v[0:1]
	v_add_nc_u32_e32 v12, 0xa00, v27
	v_add_nc_u32_e32 v14, 0xe00, v27
	;; [unrolled: 1-line block ×4, first 2 shown]
	v_add_co_u32 v10, vcc_lo, v2, v10
	v_add_co_ci_u32_e32 v11, vcc_lo, v3, v11, vcc_lo
	ds_read2_b32 v[12:13], v12 offset0:116 offset1:242
	ds_read2_b32 v[14:15], v14 offset0:112 offset1:238
	s_waitcnt lgkmcnt(4)
	global_store_dword v[10:11], v4, off
	global_store_dword v[10:11], v5, off offset:504
	s_waitcnt lgkmcnt(3)
	global_store_dword v[10:11], v6, off offset:1008
	global_store_dword v[10:11], v7, off offset:1512
	s_waitcnt lgkmcnt(2)
	global_store_dword v[10:11], v8, off offset:2016
	ds_read2_b32 v[4:5], v16 offset0:108 offset1:234
	ds_read2_b32 v[6:7], v17 offset0:104 offset1:230
	ds_read_b32 v20, v27 offset:7056
	v_add_co_u32 v16, vcc_lo, 0x800, v10
	v_add_co_ci_u32_e32 v17, vcc_lo, 0, v11, vcc_lo
	v_add_co_u32 v18, vcc_lo, 0x1000, v10
	v_add_co_ci_u32_e32 v19, vcc_lo, 0, v11, vcc_lo
	v_add_co_u32 v8, vcc_lo, 0x1800, v10
	global_store_dword v[16:17], v9, off offset:472
	s_waitcnt lgkmcnt(4)
	global_store_dword v[16:17], v12, off offset:976
	global_store_dword v[16:17], v13, off offset:1480
	s_waitcnt lgkmcnt(3)
	global_store_dword v[16:17], v14, off offset:1984
	global_store_dword v[18:19], v15, off offset:440
	v_add_co_ci_u32_e32 v9, vcc_lo, 0, v11, vcc_lo
	v_cmp_eq_u32_e32 vcc_lo, 0x7d, v0
	s_waitcnt lgkmcnt(2)
	global_store_dword v[18:19], v4, off offset:944
	global_store_dword v[18:19], v5, off offset:1448
	s_waitcnt lgkmcnt(1)
	global_store_dword v[18:19], v6, off offset:1952
	global_store_dword v[8:9], v7, off offset:408
	s_waitcnt lgkmcnt(0)
	global_store_dword v[8:9], v20, off offset:912
	s_and_b32 exec_lo, exec_lo, vcc_lo
	s_cbranch_execz .LBB0_28
; %bb.27:
	ds_read_b32 v4, v1 offset:7560
	v_add_co_u32 v0, vcc_lo, 0x1800, v2
	v_add_co_ci_u32_e32 v1, vcc_lo, 0, v3, vcc_lo
	s_waitcnt lgkmcnt(0)
	global_store_dword v[0:1], v4, off offset:1416
.LBB0_28:
	s_endpgm
	.section	.rodata,"a",@progbits
	.p2align	6, 0x0
	.amdhsa_kernel fft_rtc_back_len1890_factors_2_3_3_3_7_5_wgs_126_tpt_126_halfLds_half_ip_CI_unitstride_sbrr_R2C_dirReg
		.amdhsa_group_segment_fixed_size 0
		.amdhsa_private_segment_fixed_size 0
		.amdhsa_kernarg_size 88
		.amdhsa_user_sgpr_count 6
		.amdhsa_user_sgpr_private_segment_buffer 1
		.amdhsa_user_sgpr_dispatch_ptr 0
		.amdhsa_user_sgpr_queue_ptr 0
		.amdhsa_user_sgpr_kernarg_segment_ptr 1
		.amdhsa_user_sgpr_dispatch_id 0
		.amdhsa_user_sgpr_flat_scratch_init 0
		.amdhsa_user_sgpr_private_segment_size 0
		.amdhsa_wavefront_size32 1
		.amdhsa_uses_dynamic_stack 0
		.amdhsa_system_sgpr_private_segment_wavefront_offset 0
		.amdhsa_system_sgpr_workgroup_id_x 1
		.amdhsa_system_sgpr_workgroup_id_y 0
		.amdhsa_system_sgpr_workgroup_id_z 0
		.amdhsa_system_sgpr_workgroup_info 0
		.amdhsa_system_vgpr_workitem_id 0
		.amdhsa_next_free_vgpr 105
		.amdhsa_next_free_sgpr 21
		.amdhsa_reserve_vcc 1
		.amdhsa_reserve_flat_scratch 0
		.amdhsa_float_round_mode_32 0
		.amdhsa_float_round_mode_16_64 0
		.amdhsa_float_denorm_mode_32 3
		.amdhsa_float_denorm_mode_16_64 3
		.amdhsa_dx10_clamp 1
		.amdhsa_ieee_mode 1
		.amdhsa_fp16_overflow 0
		.amdhsa_workgroup_processor_mode 1
		.amdhsa_memory_ordered 1
		.amdhsa_forward_progress 0
		.amdhsa_shared_vgpr_count 0
		.amdhsa_exception_fp_ieee_invalid_op 0
		.amdhsa_exception_fp_denorm_src 0
		.amdhsa_exception_fp_ieee_div_zero 0
		.amdhsa_exception_fp_ieee_overflow 0
		.amdhsa_exception_fp_ieee_underflow 0
		.amdhsa_exception_fp_ieee_inexact 0
		.amdhsa_exception_int_div_zero 0
	.end_amdhsa_kernel
	.text
.Lfunc_end0:
	.size	fft_rtc_back_len1890_factors_2_3_3_3_7_5_wgs_126_tpt_126_halfLds_half_ip_CI_unitstride_sbrr_R2C_dirReg, .Lfunc_end0-fft_rtc_back_len1890_factors_2_3_3_3_7_5_wgs_126_tpt_126_halfLds_half_ip_CI_unitstride_sbrr_R2C_dirReg
                                        ; -- End function
	.section	.AMDGPU.csdata,"",@progbits
; Kernel info:
; codeLenInByte = 13272
; NumSgprs: 23
; NumVgprs: 105
; ScratchSize: 0
; MemoryBound: 0
; FloatMode: 240
; IeeeMode: 1
; LDSByteSize: 0 bytes/workgroup (compile time only)
; SGPRBlocks: 2
; VGPRBlocks: 13
; NumSGPRsForWavesPerEU: 23
; NumVGPRsForWavesPerEU: 105
; Occupancy: 9
; WaveLimiterHint : 1
; COMPUTE_PGM_RSRC2:SCRATCH_EN: 0
; COMPUTE_PGM_RSRC2:USER_SGPR: 6
; COMPUTE_PGM_RSRC2:TRAP_HANDLER: 0
; COMPUTE_PGM_RSRC2:TGID_X_EN: 1
; COMPUTE_PGM_RSRC2:TGID_Y_EN: 0
; COMPUTE_PGM_RSRC2:TGID_Z_EN: 0
; COMPUTE_PGM_RSRC2:TIDIG_COMP_CNT: 0
	.text
	.p2alignl 6, 3214868480
	.fill 48, 4, 3214868480
	.type	__hip_cuid_29be8f6f687f099e,@object ; @__hip_cuid_29be8f6f687f099e
	.section	.bss,"aw",@nobits
	.globl	__hip_cuid_29be8f6f687f099e
__hip_cuid_29be8f6f687f099e:
	.byte	0                               ; 0x0
	.size	__hip_cuid_29be8f6f687f099e, 1

	.ident	"AMD clang version 19.0.0git (https://github.com/RadeonOpenCompute/llvm-project roc-6.4.0 25133 c7fe45cf4b819c5991fe208aaa96edf142730f1d)"
	.section	".note.GNU-stack","",@progbits
	.addrsig
	.addrsig_sym __hip_cuid_29be8f6f687f099e
	.amdgpu_metadata
---
amdhsa.kernels:
  - .args:
      - .actual_access:  read_only
        .address_space:  global
        .offset:         0
        .size:           8
        .value_kind:     global_buffer
      - .offset:         8
        .size:           8
        .value_kind:     by_value
      - .actual_access:  read_only
        .address_space:  global
        .offset:         16
        .size:           8
        .value_kind:     global_buffer
      - .actual_access:  read_only
        .address_space:  global
        .offset:         24
        .size:           8
        .value_kind:     global_buffer
      - .offset:         32
        .size:           8
        .value_kind:     by_value
      - .actual_access:  read_only
        .address_space:  global
        .offset:         40
        .size:           8
        .value_kind:     global_buffer
      - .actual_access:  read_only
        .address_space:  global
        .offset:         48
        .size:           8
        .value_kind:     global_buffer
      - .offset:         56
        .size:           4
        .value_kind:     by_value
      - .actual_access:  read_only
        .address_space:  global
        .offset:         64
        .size:           8
        .value_kind:     global_buffer
      - .actual_access:  read_only
        .address_space:  global
        .offset:         72
        .size:           8
        .value_kind:     global_buffer
      - .address_space:  global
        .offset:         80
        .size:           8
        .value_kind:     global_buffer
    .group_segment_fixed_size: 0
    .kernarg_segment_align: 8
    .kernarg_segment_size: 88
    .language:       OpenCL C
    .language_version:
      - 2
      - 0
    .max_flat_workgroup_size: 126
    .name:           fft_rtc_back_len1890_factors_2_3_3_3_7_5_wgs_126_tpt_126_halfLds_half_ip_CI_unitstride_sbrr_R2C_dirReg
    .private_segment_fixed_size: 0
    .sgpr_count:     23
    .sgpr_spill_count: 0
    .symbol:         fft_rtc_back_len1890_factors_2_3_3_3_7_5_wgs_126_tpt_126_halfLds_half_ip_CI_unitstride_sbrr_R2C_dirReg.kd
    .uniform_work_group_size: 1
    .uses_dynamic_stack: false
    .vgpr_count:     105
    .vgpr_spill_count: 0
    .wavefront_size: 32
    .workgroup_processor_mode: 1
amdhsa.target:   amdgcn-amd-amdhsa--gfx1030
amdhsa.version:
  - 1
  - 2
...

	.end_amdgpu_metadata
